;; amdgpu-corpus repo=ROCm/rocFFT kind=compiled arch=gfx1201 opt=O3
	.text
	.amdgcn_target "amdgcn-amd-amdhsa--gfx1201"
	.amdhsa_code_object_version 6
	.protected	bluestein_single_back_len2500_dim1_sp_op_CI_CI ; -- Begin function bluestein_single_back_len2500_dim1_sp_op_CI_CI
	.globl	bluestein_single_back_len2500_dim1_sp_op_CI_CI
	.p2align	8
	.type	bluestein_single_back_len2500_dim1_sp_op_CI_CI,@function
bluestein_single_back_len2500_dim1_sp_op_CI_CI: ; @bluestein_single_back_len2500_dim1_sp_op_CI_CI
; %bb.0:
	s_load_b128 s[12:15], s[0:1], 0x28
	v_mul_u32_u24_e32 v1, 0x107, v0
	s_mov_b32 s2, exec_lo
	v_mov_b32_e32 v53, 0
	s_delay_alu instid0(VALU_DEP_2) | instskip(NEXT) | instid1(VALU_DEP_1)
	v_lshrrev_b32_e32 v1, 16, v1
	v_add_nc_u32_e32 v52, ttmp9, v1
	s_wait_kmcnt 0x0
	s_delay_alu instid0(VALU_DEP_1)
	v_cmpx_gt_u64_e64 s[12:13], v[52:53]
	s_cbranch_execz .LBB0_2
; %bb.1:
	s_clause 0x1
	s_load_b128 s[4:7], s[0:1], 0x18
	s_load_b128 s[8:11], s[0:1], 0x0
	v_mul_lo_u16 v1, 0xfa, v1
	s_load_b64 s[0:1], s[0:1], 0x38
	s_delay_alu instid0(VALU_DEP_1) | instskip(NEXT) | instid1(VALU_DEP_1)
	v_sub_nc_u16 v0, v0, v1
	v_and_b32_e32 v75, 0xffff, v0
	v_and_b32_e32 v33, 0xff, v0
	s_delay_alu instid0(VALU_DEP_1) | instskip(SKIP_2) | instid1(VALU_DEP_1)
	v_mul_lo_u16 v22, 0xcd, v33
	s_wait_kmcnt 0x0
	s_load_b128 s[16:19], s[4:5], 0x0
	v_lshrrev_b16 v34, 11, v22
	s_delay_alu instid0(VALU_DEP_1) | instskip(SKIP_4) | instid1(VALU_DEP_1)
	v_mul_lo_u16 v25, v34, 10
	s_wait_kmcnt 0x0
	v_mad_co_u64_u32 v[1:2], null, s18, v52, 0
	v_mad_co_u64_u32 v[3:4], null, s16, v75, 0
	s_mul_u64 s[2:3], s[16:17], 0x7d0
	v_mad_co_u64_u32 v[5:6], null, s19, v52, v[2:3]
	s_delay_alu instid0(VALU_DEP_1) | instskip(NEXT) | instid1(VALU_DEP_3)
	v_mov_b32_e32 v2, v5
	v_mad_co_u64_u32 v[6:7], null, s17, v75, v[4:5]
	v_lshlrev_b32_e32 v76, 3, v75
	s_clause 0x3
	global_load_b64 v[63:64], v76, s[8:9]
	global_load_b64 v[59:60], v76, s[8:9] offset:2000
	global_load_b64 v[55:56], v76, s[8:9] offset:4000
	;; [unrolled: 1-line block ×3, first 2 shown]
	v_mov_b32_e32 v4, v6
	v_lshlrev_b64_e32 v[1:2], 3, v[1:2]
	s_clause 0x3
	global_load_b64 v[67:68], v76, s[8:9] offset:8000
	global_load_b64 v[65:66], v76, s[8:9] offset:10000
	;; [unrolled: 1-line block ×4, first 2 shown]
	v_add_co_u32 v32, null, 0xfa, v75
	v_lshlrev_b64_e32 v[3:4], 3, v[3:4]
	v_add_co_u32 v1, vcc_lo, s14, v1
	v_add_co_ci_u32_e32 v2, vcc_lo, s15, v2, vcc_lo
	s_delay_alu instid0(VALU_DEP_2) | instskip(SKIP_1) | instid1(VALU_DEP_2)
	v_add_co_u32 v1, vcc_lo, v1, v3
	s_wait_alu 0xfffd
	v_add_co_ci_u32_e32 v2, vcc_lo, v2, v4, vcc_lo
	s_delay_alu instid0(VALU_DEP_2) | instskip(SKIP_1) | instid1(VALU_DEP_2)
	v_add_co_u32 v3, vcc_lo, v1, s2
	s_wait_alu 0xfffd
	v_add_co_ci_u32_e32 v4, vcc_lo, s3, v2, vcc_lo
	global_load_b64 v[1:2], v[1:2], off
	v_add_co_u32 v5, vcc_lo, v3, s2
	s_wait_alu 0xfffd
	v_add_co_ci_u32_e32 v6, vcc_lo, s3, v4, vcc_lo
	s_delay_alu instid0(VALU_DEP_2) | instskip(SKIP_1) | instid1(VALU_DEP_2)
	v_add_co_u32 v7, vcc_lo, v5, s2
	s_wait_alu 0xfffd
	v_add_co_ci_u32_e32 v8, vcc_lo, s3, v6, vcc_lo
	s_clause 0x1
	global_load_b64 v[3:4], v[3:4], off
	global_load_b64 v[5:6], v[5:6], off
	v_add_co_u32 v9, vcc_lo, v7, s2
	s_wait_alu 0xfffd
	v_add_co_ci_u32_e32 v10, vcc_lo, s3, v8, vcc_lo
	s_delay_alu instid0(VALU_DEP_2) | instskip(SKIP_1) | instid1(VALU_DEP_2)
	v_add_co_u32 v11, vcc_lo, v9, s2
	s_wait_alu 0xfffd
	v_add_co_ci_u32_e32 v12, vcc_lo, s3, v10, vcc_lo
	s_clause 0x1
	global_load_b64 v[7:8], v[7:8], off
	global_load_b64 v[9:10], v[9:10], off
	v_add_co_u32 v13, vcc_lo, v11, s2
	s_wait_alu 0xfffd
	v_add_co_ci_u32_e32 v14, vcc_lo, s3, v12, vcc_lo
	global_load_b64 v[11:12], v[11:12], off
	v_add_co_u32 v15, vcc_lo, v13, s2
	s_wait_alu 0xfffd
	v_add_co_ci_u32_e32 v16, vcc_lo, s3, v14, vcc_lo
	v_and_b32_e32 v21, 0xffff, v32
	s_delay_alu instid0(VALU_DEP_3) | instskip(SKIP_1) | instid1(VALU_DEP_3)
	v_add_co_u32 v17, vcc_lo, v15, s2
	s_wait_alu 0xfffd
	v_add_co_ci_u32_e32 v18, vcc_lo, s3, v16, vcc_lo
	global_load_b64 v[13:14], v[13:14], off
	global_load_b64 v[15:16], v[15:16], off
	v_add_co_u32 v19, vcc_lo, v17, s2
	s_wait_alu 0xfffd
	v_add_co_ci_u32_e32 v20, vcc_lo, s3, v18, vcc_lo
	s_add_nc_u64 s[2:3], s[8:9], 0x4e20
	s_wait_loadcnt 0x7
	v_mul_f32_e32 v22, v1, v64
	s_wait_loadcnt 0x6
	v_mul_f32_e32 v24, v3, v60
	v_mul_f32_e32 v23, v4, v60
	s_delay_alu instid0(VALU_DEP_2) | instskip(NEXT) | instid1(VALU_DEP_2)
	v_fma_f32 v24, v4, v59, -v24
	v_fmac_f32_e32 v23, v3, v59
	s_wait_loadcnt 0x4
	v_mul_f32_e32 v4, v7, v54
	v_mul_u32_u24_e32 v21, 0xcccd, v21
	v_mul_f32_e32 v3, v8, v54
	v_fma_f32 v22, v2, v63, -v22
	s_delay_alu instid0(VALU_DEP_4) | instskip(NEXT) | instid1(VALU_DEP_4)
	v_fma_f32 v4, v8, v53, -v4
	v_lshrrev_b32_e32 v35, 19, v21
	v_mul_f32_e32 v21, v2, v64
	global_load_b64 v[17:18], v[17:18], off
	s_clause 0x1
	global_load_b64 v[69:70], v76, s[8:9] offset:16000
	global_load_b64 v[71:72], v76, s[8:9] offset:18000
	global_load_b64 v[19:20], v[19:20], off
	v_add_nc_u32_e32 v80, 0xf80, v76
	v_add_nc_u32_e32 v78, 0x2ec0, v76
	v_dual_mul_f32 v2, v5, v56 :: v_dual_fmac_f32 v3, v7, v53
	v_fmac_f32_e32 v21, v1, v63
	v_mul_f32_e32 v1, v6, v56
	s_wait_loadcnt 0x6
	v_mul_f32_e32 v7, v12, v66
	v_fma_f32 v2, v6, v55, -v2
	v_mul_f32_e32 v6, v9, v68
	v_dual_mul_f32 v8, v11, v66 :: v_dual_add_nc_u32 v79, 0x1f40, v76
	v_fmac_f32_e32 v1, v5, v55
	v_mul_f32_e32 v5, v10, v68
	v_add_nc_u32_e32 v77, 0x3e80, v76
	v_fma_f32 v6, v10, v67, -v6
	s_wait_loadcnt 0x5
	v_dual_mul_f32 v10, v13, v62 :: v_dual_fmac_f32 v7, v11, v65
	v_fmac_f32_e32 v5, v9, v67
	v_mul_f32_e32 v9, v14, v62
	s_wait_loadcnt 0x4
	v_mul_f32_e32 v11, v16, v58
	v_fma_f32 v8, v12, v65, -v8
	v_mul_f32_e32 v12, v15, v58
	v_fma_f32 v10, v14, v61, -v10
	v_fmac_f32_e32 v9, v13, v61
	v_fmac_f32_e32 v11, v15, v57
	s_load_b128 s[4:7], s[6:7], 0x0
	v_fma_f32 v12, v16, v57, -v12
	v_mul_lo_u16 v26, v35, 10
	s_delay_alu instid0(VALU_DEP_1)
	v_sub_nc_u16 v36, v32, v26
	s_wait_loadcnt 0x2
	v_mul_f32_e32 v13, v18, v70
	s_wait_loadcnt 0x0
	v_dual_mul_f32 v14, v17, v70 :: v_dual_mul_f32 v15, v20, v72
	v_mul_f32_e32 v27, v19, v72
	s_delay_alu instid0(VALU_DEP_3) | instskip(NEXT) | instid1(VALU_DEP_3)
	v_fmac_f32_e32 v13, v17, v69
	v_fma_f32 v14, v18, v69, -v14
	s_delay_alu instid0(VALU_DEP_4) | instskip(NEXT) | instid1(VALU_DEP_4)
	v_fmac_f32_e32 v15, v19, v71
	v_fma_f32 v16, v20, v71, -v27
	ds_store_2addr_b64 v76, v[21:22], v[23:24] offset1:250
	ds_store_2addr_b64 v80, v[1:2], v[3:4] offset0:4 offset1:254
	ds_store_2addr_b64 v79, v[5:6], v[7:8] offset1:250
	ds_store_2addr_b64 v78, v[9:10], v[11:12] offset0:4 offset1:254
	ds_store_2addr_b64 v77, v[13:14], v[15:16] offset1:250
	global_wb scope:SCOPE_SE
	s_wait_dscnt 0x0
	s_wait_kmcnt 0x0
	s_barrier_signal -1
	s_barrier_wait -1
	global_inv scope:SCOPE_SE
	ds_load_2addr_b64 v[1:4], v76 offset1:250
	ds_load_2addr_b64 v[5:8], v80 offset0:4 offset1:254
	ds_load_2addr_b64 v[9:12], v79 offset1:250
	ds_load_2addr_b64 v[13:16], v78 offset0:4 offset1:254
	ds_load_2addr_b64 v[17:20], v77 offset1:250
	v_mul_lo_u16 v21, v0, 10
	v_sub_nc_u16 v22, v0, v25
	global_wb scope:SCOPE_SE
	s_wait_dscnt 0x0
	s_barrier_signal -1
	s_barrier_wait -1
	v_and_b32_e32 v21, 0xffff, v21
	v_and_b32_e32 v37, 0xff, v22
	v_lshlrev_b16 v22, 2, v36
	global_inv scope:SCOPE_SE
	v_and_b32_e32 v22, 0xffff, v22
	v_dual_add_f32 v38, v2, v6 :: v_dual_add_f32 v23, v1, v5
	v_add_f32_e32 v82, v12, v16
	v_dual_add_f32 v24, v9, v13 :: v_dual_sub_f32 v25, v6, v18
	v_sub_f32_e32 v86, v20, v16
	v_dual_sub_f32 v26, v10, v14 :: v_dual_sub_f32 v27, v5, v9
	v_sub_f32_e32 v28, v17, v13
	v_dual_add_f32 v29, v5, v17 :: v_dual_sub_f32 v88, v16, v20
	v_sub_f32_e32 v30, v9, v5
	v_dual_sub_f32 v5, v5, v17 :: v_dual_sub_f32 v44, v14, v18
	v_add_f32_e32 v81, v4, v8
	v_sub_f32_e32 v41, v6, v10
	v_add_f32_e32 v87, v8, v20
	v_add_f32_e32 v43, v6, v18
	v_dual_sub_f32 v6, v10, v6 :: v_dual_add_f32 v45, v3, v7
	v_add_f32_e32 v39, v10, v14
	v_add_f32_e32 v10, v38, v10
	v_sub_f32_e32 v40, v9, v13
	v_add_f32_e32 v46, v11, v15
	v_lshlrev_b32_e32 v84, 3, v21
	v_sub_f32_e32 v48, v12, v16
	v_dual_sub_f32 v50, v19, v15 :: v_dual_lshlrev_b32 v21, 5, v37
	v_sub_f32_e32 v74, v15, v19
	v_dual_sub_f32 v73, v11, v7 :: v_dual_add_f32 v10, v10, v14
	v_sub_f32_e32 v47, v8, v20
	v_sub_f32_e32 v85, v8, v12
	v_dual_sub_f32 v8, v12, v8 :: v_dual_sub_f32 v31, v13, v17
	v_add_f32_e32 v9, v23, v9
	v_fma_f32 v23, -0.5, v24, v1
	v_add_f32_e32 v24, v27, v28
	v_fma_f32 v28, -0.5, v39, v2
	v_dual_sub_f32 v42, v18, v14 :: v_dual_sub_f32 v49, v7, v11
	v_add_f32_e32 v8, v8, v88
	v_fma_f32 v27, -0.5, v29, v1
	v_add_f32_e32 v51, v7, v19
	v_sub_f32_e32 v7, v7, v19
	v_fma_f32 v39, -0.5, v82, v4
	v_fmamk_f32 v14, v5, 0xbf737871, v28
	v_fmac_f32_e32 v28, 0x3f737871, v5
	v_dual_add_f32 v12, v81, v12 :: v_dual_add_f32 v1, v30, v31
	v_add_f32_e32 v10, v10, v18
	s_delay_alu instid0(VALU_DEP_4) | instskip(NEXT) | instid1(VALU_DEP_4)
	v_fmac_f32_e32 v14, 0xbf167918, v40
	v_fmac_f32_e32 v28, 0x3f167918, v40
	s_delay_alu instid0(VALU_DEP_4)
	v_add_f32_e32 v12, v12, v16
	v_fmamk_f32 v16, v7, 0xbf737871, v39
	v_fmac_f32_e32 v4, -0.5, v87
	v_fma_f32 v30, -0.5, v43, v2
	v_dual_sub_f32 v83, v11, v15 :: v_dual_add_f32 v2, v6, v44
	v_add_f32_e32 v6, v45, v11
	v_fma_f32 v11, -0.5, v46, v3
	s_delay_alu instid0(VALU_DEP_4) | instskip(SKIP_4) | instid1(VALU_DEP_4)
	v_fmamk_f32 v43, v40, 0x3f737871, v30
	v_dual_fmac_f32 v30, 0xbf737871, v40 :: v_dual_add_f32 v29, v41, v42
	v_fmamk_f32 v42, v26, 0xbf737871, v27
	v_fma_f32 v3, -0.5, v51, v3
	v_add_f32_e32 v6, v6, v15
	v_dual_fmac_f32 v30, 0x3f167918, v5 :: v_dual_add_f32 v31, v49, v50
	s_delay_alu instid0(VALU_DEP_4) | instskip(NEXT) | instid1(VALU_DEP_4)
	v_fmac_f32_e32 v42, 0x3f167918, v25
	v_dual_fmamk_f32 v44, v48, 0xbf737871, v3 :: v_dual_add_f32 v9, v9, v13
	v_fmamk_f32 v13, v25, 0x3f737871, v23
	s_delay_alu instid0(VALU_DEP_4)
	v_fmac_f32_e32 v30, 0x3e9e377a, v2
	v_fmac_f32_e32 v43, 0xbf167918, v5
	v_add_f32_e32 v5, v6, v19
	v_dual_add_f32 v9, v9, v17 :: v_dual_add_f32 v6, v12, v20
	v_fmac_f32_e32 v23, 0xbf737871, v25
	v_add_f32_e32 v41, v85, v86
	v_fmamk_f32 v45, v83, 0x3f737871, v4
	v_fmac_f32_e32 v4, 0xbf737871, v83
	v_dual_fmac_f32 v28, 0x3e9e377a, v29 :: v_dual_fmac_f32 v43, 0x3e9e377a, v2
	v_add_f32_e32 v2, v10, v6
	v_dual_fmac_f32 v23, 0xbf167918, v26 :: v_dual_fmac_f32 v16, 0xbf167918, v83
	v_dual_add_f32 v38, v73, v74 :: v_dual_fmac_f32 v45, 0xbf167918, v7
	v_fmac_f32_e32 v14, 0x3e9e377a, v29
	v_fmamk_f32 v15, v47, 0x3f737871, v11
	s_delay_alu instid0(VALU_DEP_4)
	v_fmac_f32_e32 v23, 0x3e9e377a, v24
	v_fmac_f32_e32 v39, 0x3f737871, v7
	v_dual_fmac_f32 v16, 0x3e9e377a, v41 :: v_dual_fmac_f32 v45, 0x3e9e377a, v8
	v_fmac_f32_e32 v27, 0x3f737871, v26
	v_dual_fmac_f32 v15, 0x3f167918, v48 :: v_dual_fmac_f32 v4, 0x3f167918, v7
	v_dual_fmac_f32 v13, 0x3f167918, v26 :: v_dual_fmac_f32 v44, 0x3f167918, v47
	v_fmac_f32_e32 v39, 0x3f167918, v83
	s_delay_alu instid0(VALU_DEP_3)
	v_fmac_f32_e32 v15, 0x3e9e377a, v31
	v_mul_f32_e32 v18, 0x3f737871, v45
	v_fmac_f32_e32 v27, 0xbf167918, v25
	v_dual_fmac_f32 v13, 0x3e9e377a, v24 :: v_dual_fmac_f32 v42, 0x3e9e377a, v1
	v_dual_fmac_f32 v44, 0x3e9e377a, v38 :: v_dual_fmac_f32 v39, 0x3e9e377a, v41
	v_fmac_f32_e32 v4, 0x3e9e377a, v8
	v_mul_f32_e32 v24, 0xbf167918, v15
	v_fmac_f32_e32 v27, 0x3e9e377a, v1
	v_dual_sub_f32 v7, v9, v5 :: v_dual_sub_f32 v8, v10, v6
	s_delay_alu instid0(VALU_DEP_4) | instskip(SKIP_4) | instid1(VALU_DEP_4)
	v_mul_f32_e32 v26, 0xbe9e377a, v4
	v_mul_f32_e32 v25, 0xbf737871, v44
	v_dual_mul_f32 v17, 0x3f4f1bbd, v15 :: v_dual_fmac_f32 v24, 0x3f4f1bbd, v16
	v_fmac_f32_e32 v3, 0x3f737871, v48
	v_mul_f32_e32 v29, 0xbf4f1bbd, v39
	v_fmac_f32_e32 v25, 0x3e9e377a, v45
	v_fmac_f32_e32 v11, 0xbf737871, v47
	;; [unrolled: 1-line block ×4, first 2 shown]
	s_delay_alu instid0(VALU_DEP_3) | instskip(NEXT) | instid1(VALU_DEP_2)
	v_dual_add_f32 v10, v43, v25 :: v_dual_fmac_f32 v11, 0xbf167918, v48
	v_dual_sub_f32 v16, v43, v25 :: v_dual_sub_f32 v15, v42, v18
	s_delay_alu instid0(VALU_DEP_2) | instskip(SKIP_2) | instid1(VALU_DEP_3)
	v_fmac_f32_e32 v11, 0x3e9e377a, v31
	v_add_f32_e32 v1, v9, v5
	v_add_f32_e32 v9, v42, v18
	v_fmac_f32_e32 v29, 0xbf167918, v11
	v_fmac_f32_e32 v3, 0xbf167918, v47
	v_mul_f32_e32 v20, 0xbf4f1bbd, v11
	s_delay_alu instid0(VALU_DEP_2) | instskip(NEXT) | instid1(VALU_DEP_2)
	v_dual_add_f32 v6, v28, v29 :: v_dual_fmac_f32 v3, 0x3e9e377a, v38
	v_fmac_f32_e32 v20, 0x3f167918, v39
	s_delay_alu instid0(VALU_DEP_2) | instskip(SKIP_1) | instid1(VALU_DEP_3)
	v_mul_f32_e32 v19, 0xbe9e377a, v3
	v_dual_fmac_f32 v26, 0xbf737871, v3 :: v_dual_add_f32 v3, v13, v17
	v_add_f32_e32 v5, v23, v20
	v_sub_f32_e32 v13, v13, v17
	s_delay_alu instid0(VALU_DEP_4) | instskip(SKIP_3) | instid1(VALU_DEP_4)
	v_fmac_f32_e32 v19, 0x3f737871, v4
	v_add_f32_e32 v4, v14, v24
	v_add_f32_e32 v12, v30, v26
	v_sub_f32_e32 v14, v14, v24
	v_dual_sub_f32 v18, v30, v26 :: v_dual_add_f32 v11, v27, v19
	v_sub_f32_e32 v17, v27, v19
	v_dual_sub_f32 v19, v23, v20 :: v_dual_sub_f32 v20, v28, v29
	ds_store_b128 v84, v[1:4]
	ds_store_b128 v84, v[9:12] offset:16
	ds_store_b128 v84, v[5:8] offset:32
	;; [unrolled: 1-line block ×4, first 2 shown]
	v_lshlrev_b32_e32 v1, 3, v22
	global_wb scope:SCOPE_SE
	s_wait_dscnt 0x0
	s_barrier_signal -1
	s_barrier_wait -1
	global_inv scope:SCOPE_SE
	s_clause 0x3
	global_load_b128 v[28:31], v21, s[10:11]
	global_load_b128 v[24:27], v21, s[10:11] offset:16
	global_load_b128 v[20:23], v1, s[10:11]
	global_load_b128 v[16:19], v1, s[10:11] offset:16
	v_mul_lo_u16 v1, v33, 41
	v_mad_u16 v14, v35, 50, v36
	ds_load_2addr_b64 v[9:12], v78 offset0:4 offset1:254
	v_lshrrev_b16 v43, 11, v1
	ds_load_2addr_b64 v[1:4], v80 offset0:4 offset1:254
	v_mul_lo_u16 v5, v43, 50
	s_delay_alu instid0(VALU_DEP_1) | instskip(SKIP_3) | instid1(VALU_DEP_1)
	v_sub_nc_u16 v0, v0, v5
	ds_load_2addr_b64 v[5:8], v79 offset1:250
	v_and_b32_e32 v45, 0xff, v0
	v_and_b32_e32 v0, 0xffff, v14
	v_lshlrev_b32_e32 v82, 3, v0
	s_wait_loadcnt_dscnt 0x202
	v_mul_f32_e32 v46, v9, v25
	s_wait_loadcnt_dscnt 0x100
	v_dual_mul_f32 v50, v3, v21 :: v_dual_mul_f32 v51, v8, v23
	s_wait_loadcnt 0x0
	v_mul_f32_e32 v74, v12, v17
	v_mul_f32_e32 v44, v10, v25
	v_fmac_f32_e32 v46, v10, v24
	v_fmac_f32_e32 v50, v4, v20
	v_mul_f32_e32 v49, v4, v21
	v_fma_f32 v4, v7, v22, -v51
	v_and_b32_e32 v13, 0xffff, v34
	ds_load_2addr_b64 v[33:36], v77 offset1:250
	v_fma_f32 v10, v11, v16, -v74
	v_mul_f32_e32 v81, v11, v17
	v_mul_f32_e32 v0, v2, v29
	v_mul_u32_u24_e32 v13, 50, v13
	v_mul_f32_e32 v14, v6, v31
	v_sub_f32_e32 v100, v4, v10
	s_delay_alu instid0(VALU_DEP_4) | instskip(NEXT) | instid1(VALU_DEP_4)
	v_fma_f32 v0, v1, v28, -v0
	v_add_lshl_u32 v83, v13, v37, 3
	ds_load_2addr_b64 v[37:40], v76 offset1:250
	global_wb scope:SCOPE_SE
	s_wait_dscnt 0x0
	s_barrier_signal -1
	s_barrier_wait -1
	global_inv scope:SCOPE_SE
	v_mul_f32_e32 v48, v33, v27
	v_mul_f32_e32 v86, v35, v19
	s_delay_alu instid0(VALU_DEP_2) | instskip(NEXT) | instid1(VALU_DEP_2)
	v_dual_fmac_f32 v48, v34, v26 :: v_dual_mul_f32 v15, v5, v31
	v_fmac_f32_e32 v86, v36, v18
	s_delay_alu instid0(VALU_DEP_2) | instskip(NEXT) | instid1(VALU_DEP_3)
	v_sub_f32_e32 v74, v48, v46
	v_fmac_f32_e32 v15, v6, v30
	v_mul_f32_e32 v13, v1, v29
	v_fma_f32 v6, v9, v24, -v44
	v_fmac_f32_e32 v81, v12, v16
	s_delay_alu instid0(VALU_DEP_4) | instskip(NEXT) | instid1(VALU_DEP_4)
	v_dual_mul_f32 v85, v36, v19 :: v_dual_add_f32 v44, v15, v46
	v_fmac_f32_e32 v13, v2, v28
	v_sub_f32_e32 v90, v50, v86
	v_fma_f32 v2, v3, v20, -v49
	v_mul_f32_e32 v47, v34, v27
	v_fma_f32 v1, v5, v30, -v14
	v_dual_add_f32 v97, v40, v50 :: v_dual_sub_f32 v102, v86, v81
	s_delay_alu instid0(VALU_DEP_4) | instskip(NEXT) | instid1(VALU_DEP_4)
	v_add_f32_e32 v88, v39, v2
	v_fma_f32 v14, v33, v26, -v47
	v_fma_f32 v33, v35, v18, -v85
	v_mul_f32_e32 v73, v7, v23
	v_dual_sub_f32 v7, v0, v1 :: v_dual_sub_f32 v92, v2, v4
	v_add_f32_e32 v103, v50, v86
	s_delay_alu instid0(VALU_DEP_3)
	v_dual_sub_f32 v96, v10, v33 :: v_dual_fmac_f32 v73, v8, v22
	v_sub_f32_e32 v8, v14, v6
	v_sub_f32_e32 v93, v33, v10
	v_add_f32_e32 v3, v37, v0
	v_add_f32_e32 v5, v1, v6
	v_dual_sub_f32 v101, v50, v73 :: v_dual_sub_f32 v50, v73, v50
	v_sub_f32_e32 v34, v13, v48
	v_add_f32_e32 v36, v38, v13
	v_dual_add_f32 v106, v7, v8 :: v_dual_sub_f32 v51, v13, v15
	v_sub_f32_e32 v87, v46, v48
	v_add_f32_e32 v105, v3, v1
	s_delay_alu instid0(VALU_DEP_4)
	v_add_f32_e32 v7, v36, v15
	v_add_f32_e32 v85, v13, v48
	v_sub_f32_e32 v13, v15, v13
	v_add_f32_e32 v36, v51, v74
	v_sub_f32_e32 v104, v81, v86
	;; [unrolled: 2-line block ×3, first 2 shown]
	v_dual_sub_f32 v11, v1, v0 :: v_dual_add_f32 v94, v2, v33
	s_delay_alu instid0(VALU_DEP_4)
	v_dual_sub_f32 v95, v4, v2 :: v_dual_add_f32 v50, v50, v104
	v_add_f32_e32 v15, v105, v6
	v_sub_f32_e32 v99, v2, v33
	v_fma_f32 v2, -0.5, v9, v37
	v_sub_f32_e32 v49, v1, v6
	v_fma_f32 v1, -0.5, v44, v38
	v_add_f32_e32 v46, v7, v46
	v_fma_f32 v3, -0.5, v85, v38
	v_dual_add_f32 v38, v13, v87 :: v_dual_sub_f32 v47, v0, v14
	v_fmamk_f32 v8, v35, 0xbf737871, v2
	v_fma_f32 v0, -0.5, v5, v37
	v_dual_sub_f32 v12, v6, v14 :: v_dual_sub_f32 v91, v73, v81
	v_dual_add_f32 v89, v4, v10 :: v_dual_add_f32 v98, v73, v81
	s_delay_alu instid0(VALU_DEP_3) | instskip(NEXT) | instid1(VALU_DEP_3)
	v_fmamk_f32 v6, v34, 0x3f737871, v0
	v_dual_fmac_f32 v0, 0xbf737871, v34 :: v_dual_add_f32 v37, v11, v12
	v_fmac_f32_e32 v2, 0x3f737871, v35
	v_fmac_f32_e32 v8, 0x3f167918, v34
	s_delay_alu instid0(VALU_DEP_4) | instskip(NEXT) | instid1(VALU_DEP_4)
	v_fmac_f32_e32 v6, 0x3f167918, v35
	v_dual_fmac_f32 v0, 0xbf167918, v35 :: v_dual_add_f32 v13, v97, v73
	s_delay_alu instid0(VALU_DEP_4) | instskip(SKIP_1) | instid1(VALU_DEP_4)
	v_fmac_f32_e32 v2, 0xbf167918, v34
	v_fma_f32 v5, -0.5, v98, v40
	v_fmac_f32_e32 v6, 0x3e9e377a, v106
	s_delay_alu instid0(VALU_DEP_4) | instskip(SKIP_3) | instid1(VALU_DEP_4)
	v_dual_fmac_f32 v0, 0x3e9e377a, v106 :: v_dual_add_f32 v81, v13, v81
	v_add_f32_e32 v11, v88, v4
	v_fma_f32 v4, -0.5, v89, v39
	v_fma_f32 v39, -0.5, v94, v39
	v_dual_fmamk_f32 v7, v47, 0xbf737871, v1 :: v_dual_add_f32 v34, v81, v86
	s_delay_alu instid0(VALU_DEP_4) | instskip(NEXT) | instid1(VALU_DEP_4)
	v_add_f32_e32 v74, v11, v10
	v_fmamk_f32 v10, v90, 0x3f737871, v4
	v_fmac_f32_e32 v4, 0xbf737871, v90
	v_fmamk_f32 v12, v91, 0xbf737871, v39
	v_fmac_f32_e32 v39, 0x3f737871, v91
	;; [unrolled: 2-line block ×3, first 2 shown]
	v_dual_fmac_f32 v40, -0.5, v103 :: v_dual_fmac_f32 v3, 0xbf737871, v49
	v_fmac_f32_e32 v1, 0x3f737871, v47
	v_fmac_f32_e32 v4, 0xbf167918, v91
	;; [unrolled: 1-line block ×3, first 2 shown]
	v_add_f32_e32 v14, v15, v14
	v_fmamk_f32 v11, v99, 0xbf737871, v5
	v_fmac_f32_e32 v5, 0x3f737871, v99
	v_fmamk_f32 v13, v100, 0x3f737871, v40
	v_fmac_f32_e32 v40, 0xbf737871, v100
	v_fmac_f32_e32 v12, 0x3f167918, v90
	v_dual_fmac_f32 v39, 0xbf167918, v90 :: v_dual_lshlrev_b32 v90, 5, v75
	v_fmac_f32_e32 v7, 0xbf167918, v49
	v_fmac_f32_e32 v9, 0xbf167918, v47
	;; [unrolled: 1-line block ×3, first 2 shown]
	v_mad_co_u64_u32 v[41:42], null, 0x48, v45, s[10:11]
	v_fmac_f32_e32 v1, 0x3f167918, v49
	v_dual_add_f32 v44, v92, v93 :: v_dual_add_f32 v73, v101, v102
	v_fmac_f32_e32 v8, 0x3e9e377a, v37
	v_fmac_f32_e32 v11, 0xbf167918, v100
	v_dual_add_f32 v51, v95, v96 :: v_dual_fmac_f32 v40, 0x3f167918, v99
	v_fmac_f32_e32 v5, 0x3f167918, v100
	v_fmac_f32_e32 v13, 0xbf167918, v99
	s_delay_alu instid0(VALU_DEP_3) | instskip(NEXT) | instid1(VALU_DEP_4)
	v_dual_add_f32 v15, v46, v48 :: v_dual_fmac_f32 v12, 0x3e9e377a, v51
	v_dual_fmac_f32 v7, 0x3e9e377a, v36 :: v_dual_fmac_f32 v40, 0x3e9e377a, v50
	v_dual_fmac_f32 v9, 0x3e9e377a, v38 :: v_dual_fmac_f32 v4, 0x3e9e377a, v44
	v_fmac_f32_e32 v3, 0x3e9e377a, v38
	v_fmac_f32_e32 v1, 0x3e9e377a, v36
	v_dual_add_f32 v33, v74, v33 :: v_dual_fmac_f32 v10, 0x3e9e377a, v44
	v_fmac_f32_e32 v11, 0x3e9e377a, v73
	v_fmac_f32_e32 v39, 0x3e9e377a, v51
	;; [unrolled: 1-line block ×4, first 2 shown]
	ds_store_2addr_b64 v83, v[14:15], v[6:7] offset1:10
	ds_store_2addr_b64 v83, v[8:9], v[2:3] offset0:20 offset1:30
	ds_store_b64 v83, v[0:1] offset:320
	ds_store_2addr_b64 v82, v[33:34], v[10:11] offset1:10
	ds_store_2addr_b64 v82, v[12:13], v[39:40] offset0:20 offset1:30
	ds_store_b64 v82, v[4:5] offset:320
	global_wb scope:SCOPE_SE
	s_wait_dscnt 0x0
	s_barrier_signal -1
	s_barrier_wait -1
	global_inv scope:SCOPE_SE
	s_clause 0x4
	global_load_b128 v[12:15], v[41:42], off offset:320
	global_load_b128 v[8:11], v[41:42], off offset:336
	;; [unrolled: 1-line block ×4, first 2 shown]
	global_load_b64 v[73:74], v[41:42], off offset:384
	ds_load_2addr_b64 v[33:36], v76 offset1:250
	ds_load_2addr_b64 v[37:40], v80 offset0:4 offset1:254
	ds_load_2addr_b64 v[86:89], v77 offset1:250
	s_wait_loadcnt_dscnt 0x402
	v_dual_mul_f32 v32, v36, v13 :: v_dual_lshlrev_b32 v91, 5, v32
	s_wait_loadcnt_dscnt 0x301
	v_mul_f32_e32 v93, v39, v9
	v_dual_mul_f32 v49, v35, v13 :: v_dual_mul_f32 v50, v38, v15
	v_mul_f32_e32 v92, v40, v9
	s_wait_loadcnt_dscnt 0x0
	s_delay_alu instid0(VALU_DEP_3)
	v_dual_mul_f32 v104, v89, v74 :: v_dual_fmac_f32 v93, v40, v8
	v_mul_f32_e32 v105, v88, v74
	v_fma_f32 v106, v35, v12, -v32
	v_fma_f32 v32, v37, v14, -v50
	;; [unrolled: 1-line block ×3, first 2 shown]
	v_mul_f32_e32 v51, v37, v15
	v_fmac_f32_e32 v105, v89, v73
	v_and_b32_e32 v41, 0xffff, v43
	v_dual_fmac_f32 v49, v36, v12 :: v_dual_mul_f32 v102, v87, v3
	s_delay_alu instid0(VALU_DEP_2)
	v_mul_u32_u24_e32 v46, 0x1f4, v41
	ds_load_2addr_b64 v[41:44], v79 offset1:250
	v_fma_f32 v40, v86, v2, -v102
	v_add_lshl_u32 v81, v46, v45, 3
	ds_load_2addr_b64 v[45:48], v78 offset0:4 offset1:254
	global_wb scope:SCOPE_SE
	s_wait_dscnt 0x0
	s_barrier_signal -1
	s_barrier_wait -1
	global_inv scope:SCOPE_SE
	v_mul_f32_e32 v94, v42, v11
	v_dual_mul_f32 v96, v44, v5 :: v_dual_mul_f32 v95, v41, v11
	v_mul_f32_e32 v98, v46, v7
	s_delay_alu instid0(VALU_DEP_3) | instskip(NEXT) | instid1(VALU_DEP_3)
	v_fma_f32 v36, v41, v10, -v94
	v_fma_f32 v37, v43, v4, -v96
	v_fma_f32 v41, v88, v73, -v104
	v_mul_f32_e32 v100, v48, v1
	s_delay_alu instid0(VALU_DEP_4) | instskip(NEXT) | instid1(VALU_DEP_4)
	v_sub_f32_e32 v50, v36, v32
	v_sub_f32_e32 v108, v35, v37
	s_delay_alu instid0(VALU_DEP_4)
	v_dual_add_f32 v110, v35, v41 :: v_dual_fmac_f32 v95, v42, v10
	v_fmac_f32_e32 v51, v38, v14
	v_fma_f32 v38, v45, v6, -v98
	v_mul_f32_e32 v97, v43, v5
	v_fma_f32 v39, v47, v0, -v100
	v_add_nc_u32_e32 v85, 0x800, v81
	v_mul_f32_e32 v99, v45, v7
	v_sub_f32_e32 v89, v36, v38
	v_dual_add_f32 v43, v36, v38 :: v_dual_add_f32 v42, v33, v32
	v_add_f32_e32 v102, v37, v39
	v_add_f32_e32 v100, v106, v35
	v_sub_f32_e32 v112, v39, v41
	s_delay_alu instid0(VALU_DEP_4) | instskip(SKIP_2) | instid1(VALU_DEP_2)
	v_fma_f32 v120, -0.5, v43, v33
	v_mul_f32_e32 v101, v47, v1
	v_sub_f32_e32 v115, v37, v39
	v_fmac_f32_e32 v101, v48, v0
	v_dual_mul_f32 v103, v86, v3 :: v_dual_add_f32 v48, v32, v40
	s_delay_alu instid0(VALU_DEP_2) | instskip(SKIP_1) | instid1(VALU_DEP_3)
	v_dual_sub_f32 v86, v38, v40 :: v_dual_sub_f32 v117, v105, v101
	v_dual_fmac_f32 v99, v46, v6 :: v_dual_sub_f32 v46, v32, v36
	v_fma_f32 v48, -0.5, v48, v33
	v_add_f32_e32 v33, v42, v36
	s_delay_alu instid0(VALU_DEP_4) | instskip(SKIP_4) | instid1(VALU_DEP_3)
	v_add_f32_e32 v36, v50, v86
	v_fma_f32 v50, -0.5, v102, v106
	v_dual_fmac_f32 v106, -0.5, v110 :: v_dual_fmac_f32 v97, v44, v4
	v_dual_sub_f32 v47, v40, v38 :: v_dual_add_f32 v88, v95, v99
	v_sub_f32_e32 v32, v32, v40
	v_dual_add_f32 v114, v97, v101 :: v_dual_fmac_f32 v103, v87, v2
	v_add_f32_e32 v87, v34, v51
	s_delay_alu instid0(VALU_DEP_4) | instskip(NEXT) | instid1(VALU_DEP_3)
	v_fma_f32 v88, -0.5, v88, v34
	v_sub_f32_e32 v94, v103, v99
	s_delay_alu instid0(VALU_DEP_3) | instskip(SKIP_2) | instid1(VALU_DEP_1)
	v_add_f32_e32 v42, v87, v95
	v_sub_f32_e32 v44, v51, v103
	v_sub_f32_e32 v92, v51, v95
	v_add_f32_e32 v43, v92, v94
	s_delay_alu instid0(VALU_DEP_3) | instskip(SKIP_4) | instid1(VALU_DEP_3)
	v_fmamk_f32 v94, v44, 0x3f737871, v120
	v_fmac_f32_e32 v120, 0xbf737871, v44
	v_add_f32_e32 v96, v51, v103
	v_sub_f32_e32 v51, v95, v51
	v_dual_sub_f32 v98, v99, v103 :: v_dual_add_f32 v33, v33, v38
	v_fma_f32 v96, -0.5, v96, v34
	v_add_f32_e32 v34, v46, v47
	s_delay_alu instid0(VALU_DEP_3)
	v_add_f32_e32 v46, v51, v98
	v_add_f32_e32 v118, v93, v105
	v_add_f32_e32 v113, v49, v93
	v_fmamk_f32 v98, v89, 0x3f737871, v96
	v_fmac_f32_e32 v96, 0xbf737871, v89
	v_sub_f32_e32 v104, v93, v105
	v_fma_f32 v87, -0.5, v114, v49
	v_dual_add_f32 v86, v113, v97 :: v_dual_sub_f32 v45, v95, v99
	v_sub_f32_e32 v109, v41, v39
	v_sub_f32_e32 v111, v37, v35
	v_dual_add_f32 v37, v100, v37 :: v_dual_fmac_f32 v98, 0xbf167918, v32
	s_delay_alu instid0(VALU_DEP_4)
	v_fmamk_f32 v95, v45, 0xbf737871, v48
	v_fmac_f32_e32 v48, 0x3f737871, v45
	v_sub_f32_e32 v116, v93, v97
	v_fmac_f32_e32 v94, 0x3f167918, v45
	v_sub_f32_e32 v93, v97, v93
	v_fmac_f32_e32 v120, 0xbf167918, v45
	v_fmac_f32_e32 v48, 0xbf167918, v44
	s_delay_alu instid0(VALU_DEP_4) | instskip(SKIP_1) | instid1(VALU_DEP_3)
	v_dual_add_f32 v51, v111, v112 :: v_dual_fmac_f32 v94, 0x3e9e377a, v34
	v_dual_add_f32 v92, v116, v117 :: v_dual_fmac_f32 v49, -0.5, v118
	v_fmac_f32_e32 v48, 0x3e9e377a, v36
	v_dual_add_f32 v38, v42, v99 :: v_dual_sub_f32 v107, v97, v101
	v_fmamk_f32 v97, v32, 0xbf737871, v88
	v_fmac_f32_e32 v88, 0x3f737871, v32
	v_dual_fmamk_f32 v100, v115, 0x3f737871, v49 :: v_dual_sub_f32 v119, v101, v105
	v_fmac_f32_e32 v96, 0x3f167918, v32
	v_fmamk_f32 v42, v107, 0xbf737871, v106
	v_fmac_f32_e32 v106, 0x3f737871, v107
	v_fmac_f32_e32 v88, 0x3f167918, v89
	;; [unrolled: 1-line block ×5, first 2 shown]
	v_dual_fmac_f32 v106, 0xbf167918, v104 :: v_dual_add_f32 v37, v37, v39
	v_dual_fmac_f32 v88, 0x3e9e377a, v43 :: v_dual_sub_f32 v35, v35, v41
	v_add_f32_e32 v40, v33, v40
	v_dual_add_f32 v93, v93, v119 :: v_dual_fmac_f32 v120, 0x3e9e377a, v34
	s_delay_alu instid0(VALU_DEP_4) | instskip(NEXT) | instid1(VALU_DEP_4)
	v_add_f32_e32 v37, v37, v41
	v_fmamk_f32 v99, v35, 0xbf737871, v87
	v_dual_add_f32 v47, v108, v109 :: v_dual_fmac_f32 v100, 0xbf167918, v35
	v_fmac_f32_e32 v42, 0x3e9e377a, v51
	s_delay_alu instid0(VALU_DEP_3) | instskip(SKIP_3) | instid1(VALU_DEP_4)
	v_dual_sub_f32 v34, v40, v37 :: v_dual_fmac_f32 v99, 0xbf167918, v115
	v_fmac_f32_e32 v106, 0x3e9e377a, v51
	v_add_f32_e32 v32, v40, v37
	v_fmac_f32_e32 v100, 0x3e9e377a, v93
	v_dual_add_f32 v86, v86, v101 :: v_dual_fmac_f32 v99, 0x3e9e377a, v92
	v_fmac_f32_e32 v95, 0x3f167918, v44
	v_fmac_f32_e32 v49, 0xbf737871, v115
	s_delay_alu instid0(VALU_DEP_4) | instskip(NEXT) | instid1(VALU_DEP_4)
	v_dual_mul_f32 v45, 0x3f737871, v100 :: v_dual_add_f32 v38, v38, v103
	v_mul_f32_e32 v44, 0x3f167918, v99
	s_delay_alu instid0(VALU_DEP_4) | instskip(SKIP_1) | instid1(VALU_DEP_4)
	v_fmac_f32_e32 v95, 0x3e9e377a, v36
	v_fmac_f32_e32 v87, 0x3f737871, v35
	;; [unrolled: 1-line block ×3, first 2 shown]
	v_fmamk_f32 v39, v104, 0x3f737871, v50
	v_fmac_f32_e32 v50, 0xbf737871, v104
	s_delay_alu instid0(VALU_DEP_3) | instskip(NEXT) | instid1(VALU_DEP_2)
	v_dual_fmac_f32 v49, 0x3f167918, v35 :: v_dual_sub_f32 v46, v95, v45
	v_dual_fmac_f32 v50, 0xbf167918, v107 :: v_dual_add_f32 v41, v86, v105
	s_delay_alu instid0(VALU_DEP_1) | instskip(NEXT) | instid1(VALU_DEP_2)
	v_dual_fmac_f32 v49, 0x3e9e377a, v93 :: v_dual_fmac_f32 v50, 0x3e9e377a, v47
	v_add_f32_e32 v33, v38, v41
	v_sub_f32_e32 v35, v38, v41
	v_dual_add_f32 v38, v95, v45 :: v_dual_fmac_f32 v39, 0x3f167918, v107
	s_delay_alu instid0(VALU_DEP_4) | instskip(NEXT) | instid1(VALU_DEP_2)
	v_mul_f32_e32 v51, 0xbf4f1bbd, v50
	v_fmac_f32_e32 v39, 0x3e9e377a, v47
	v_mul_f32_e32 v47, 0xbe9e377a, v106
	s_delay_alu instid0(VALU_DEP_2) | instskip(NEXT) | instid1(VALU_DEP_2)
	v_fmac_f32_e32 v44, 0x3f4f1bbd, v39
	v_fmac_f32_e32 v47, 0x3f737871, v49
	v_mul_f32_e32 v86, 0xbf167918, v39
	s_delay_alu instid0(VALU_DEP_3) | instskip(SKIP_1) | instid1(VALU_DEP_4)
	v_add_f32_e32 v36, v94, v44
	v_dual_sub_f32 v44, v94, v44 :: v_dual_fmac_f32 v87, 0x3f167918, v115
	v_dual_add_f32 v40, v48, v47 :: v_dual_fmac_f32 v97, 0xbf167918, v89
	s_delay_alu instid0(VALU_DEP_4) | instskip(NEXT) | instid1(VALU_DEP_3)
	v_fmac_f32_e32 v86, 0x3f4f1bbd, v99
	v_dual_sub_f32 v48, v48, v47 :: v_dual_fmac_f32 v87, 0x3e9e377a, v92
	s_delay_alu instid0(VALU_DEP_3) | instskip(NEXT) | instid1(VALU_DEP_2)
	v_fmac_f32_e32 v97, 0x3e9e377a, v43
	v_fmac_f32_e32 v51, 0x3f167918, v87
	v_mul_f32_e32 v89, 0xbf737871, v42
	v_mul_f32_e32 v93, 0xbf4f1bbd, v87
	s_delay_alu instid0(VALU_DEP_4) | instskip(NEXT) | instid1(VALU_DEP_4)
	v_add_f32_e32 v37, v97, v86
	v_dual_sub_f32 v45, v97, v86 :: v_dual_add_f32 v42, v120, v51
	v_mul_f32_e32 v92, 0xbe9e377a, v49
	s_delay_alu instid0(VALU_DEP_4) | instskip(SKIP_1) | instid1(VALU_DEP_2)
	v_dual_fmac_f32 v93, 0xbf167918, v50 :: v_dual_sub_f32 v50, v120, v51
	v_fmac_f32_e32 v89, 0x3e9e377a, v100
	v_dual_fmac_f32 v92, 0xbf737871, v106 :: v_dual_add_f32 v43, v88, v93
	v_sub_f32_e32 v51, v88, v93
	s_delay_alu instid0(VALU_DEP_3) | instskip(SKIP_1) | instid1(VALU_DEP_4)
	v_add_f32_e32 v39, v98, v89
	v_sub_f32_e32 v47, v98, v89
	v_add_f32_e32 v41, v96, v92
	v_sub_f32_e32 v49, v96, v92
	ds_store_2addr_b64 v81, v[32:33], v[36:37] offset1:50
	ds_store_2addr_b64 v81, v[38:39], v[40:41] offset0:100 offset1:150
	ds_store_2addr_b64 v81, v[42:43], v[34:35] offset0:200 offset1:250
	;; [unrolled: 1-line block ×4, first 2 shown]
	global_wb scope:SCOPE_SE
	s_wait_dscnt 0x0
	s_barrier_signal -1
	s_barrier_wait -1
	global_inv scope:SCOPE_SE
	s_clause 0x3
	global_load_b128 v[44:47], v90, s[10:11] offset:3920
	global_load_b128 v[36:39], v91, s[10:11] offset:3920
	;; [unrolled: 1-line block ×4, first 2 shown]
	ds_load_2addr_b64 v[48:51], v80 offset0:4 offset1:254
	ds_load_2addr_b64 v[86:89], v79 offset1:250
	ds_load_2addr_b64 v[90:93], v78 offset0:4 offset1:254
	ds_load_2addr_b64 v[94:97], v77 offset1:250
	ds_load_2addr_b64 v[98:101], v76 offset1:250
	s_wait_loadcnt_dscnt 0x304
	v_mul_f32_e32 v102, v49, v45
	s_wait_loadcnt 0x2
	v_mul_f32_e32 v106, v50, v37
	s_wait_dscnt 0x3
	v_mul_f32_e32 v110, v88, v39
	s_wait_loadcnt_dscnt 0x2
	v_mul_f32_e32 v114, v92, v33
	s_wait_dscnt 0x1
	v_mul_f32_e32 v117, v96, v35
	v_mul_f32_e32 v104, v87, v47
	v_fmac_f32_e32 v106, v51, v36
	v_fmac_f32_e32 v110, v89, v38
	v_mul_f32_e32 v109, v89, v39
	v_dual_fmac_f32 v114, v93, v32 :: v_dual_mul_f32 v105, v51, v37
	v_fmac_f32_e32 v117, v97, v34
	v_mul_f32_e32 v111, v90, v41
	v_sub_f32_e32 v122, v110, v106
	v_fma_f32 v51, v88, v38, -v109
	v_mul_f32_e32 v115, v94, v43
	v_mul_f32_e32 v112, v95, v43
	v_dual_sub_f32 v124, v117, v114 :: v_dual_fmac_f32 v111, v91, v40
	v_mul_f32_e32 v108, v91, v41
	s_delay_alu instid0(VALU_DEP_4) | instskip(SKIP_4) | instid1(VALU_DEP_4)
	v_fmac_f32_e32 v115, v95, v42
	v_mul_f32_e32 v103, v48, v45
	v_fma_f32 v48, v48, v44, -v102
	v_fma_f32 v102, v94, v42, -v112
	v_add_f32_e32 v120, v110, v114
	v_dual_sub_f32 v118, v111, v115 :: v_dual_fmac_f32 v103, v49, v44
	v_add_f32_e32 v126, v106, v117
	v_fma_f32 v49, v50, v36, -v105
	v_mul_f32_e32 v107, v86, v47
	v_fma_f32 v50, v86, v46, -v104
	s_wait_dscnt 0x0
	v_dual_add_f32 v86, v98, v48 :: v_dual_mul_f32 v113, v93, v33
	v_mul_f32_e32 v116, v97, v35
	v_fma_f32 v88, v90, v40, -v108
	v_sub_f32_e32 v108, v48, v102
	v_sub_f32_e32 v123, v110, v114
	;; [unrolled: 1-line block ×3, first 2 shown]
	v_add_f32_e32 v95, v48, v102
	v_sub_f32_e32 v129, v51, v49
	v_sub_f32_e32 v91, v48, v50
	v_add_f32_e32 v135, v86, v50
	v_add_f32_e32 v119, v101, v106
	v_dual_sub_f32 v93, v50, v48 :: v_dual_add_f32 v48, v100, v49
	v_dual_fmac_f32 v107, v87, v46 :: v_dual_sub_f32 v106, v106, v117
	v_fma_f32 v104, v96, v34, -v116
	v_add_f32_e32 v90, v50, v88
	v_sub_f32_e32 v128, v49, v51
	s_delay_alu instid0(VALU_DEP_4)
	v_add_f32_e32 v96, v107, v111
	v_add_f32_e32 v136, v48, v51
	v_fma_f32 v89, v92, v32, -v113
	v_add_f32_e32 v133, v49, v104
	v_dual_sub_f32 v134, v49, v104 :: v_dual_sub_f32 v113, v103, v115
	v_fma_f32 v48, -0.5, v90, v98
	s_delay_alu instid0(VALU_DEP_4)
	v_add_f32_e32 v127, v51, v89
	v_fma_f32 v49, -0.5, v96, v99
	v_add_f32_e32 v96, v135, v88
	v_sub_f32_e32 v92, v102, v88
	v_dual_sub_f32 v105, v50, v88 :: v_dual_sub_f32 v94, v88, v102
	v_dual_sub_f32 v109, v107, v111 :: v_dual_fmamk_f32 v88, v113, 0x3f737871, v48
	v_dual_sub_f32 v97, v103, v107 :: v_dual_fmac_f32 v48, 0xbf737871, v113
	v_sub_f32_e32 v116, v115, v111
	v_add_f32_e32 v87, v99, v103
	v_fma_f32 v86, -0.5, v127, v100
	v_add_f32_e32 v96, v96, v102
	v_fma_f32 v100, -0.5, v133, v100
	v_add_f32_e32 v116, v97, v116
	v_sub_f32_e32 v112, v107, v103
	v_add_f32_e32 v107, v87, v107
	v_add_f32_e32 v110, v119, v110
	v_fma_f32 v87, -0.5, v120, v101
	v_dual_fmac_f32 v88, 0x3f167918, v109 :: v_dual_add_f32 v137, v93, v94
	v_fmamk_f32 v94, v123, 0xbf737871, v100
	v_add_f32_e32 v120, v121, v124
	v_fma_f32 v50, -0.5, v95, v98
	v_dual_add_f32 v103, v103, v115 :: v_dual_sub_f32 v132, v89, v104
	v_sub_f32_e32 v130, v51, v89
	v_add_f32_e32 v98, v136, v89
	s_delay_alu instid0(VALU_DEP_4) | instskip(SKIP_2) | instid1(VALU_DEP_4)
	v_fmamk_f32 v90, v109, 0xbf737871, v50
	v_fmac_f32_e32 v50, 0x3f737871, v109
	v_fma_f32 v51, -0.5, v103, v99
	v_dual_sub_f32 v131, v104, v89 :: v_dual_add_f32 v98, v98, v104
	v_dual_add_f32 v103, v112, v118 :: v_dual_fmac_f32 v100, 0x3f737871, v123
	v_add_f32_e32 v118, v129, v132
	v_dual_add_f32 v119, v91, v92 :: v_dual_fmac_f32 v50, 0xbf167918, v113
	v_fmac_f32_e32 v101, -0.5, v126
	v_fmamk_f32 v89, v108, 0xbf737871, v49
	v_fmamk_f32 v91, v105, 0x3f737871, v51
	v_fmac_f32_e32 v51, 0xbf737871, v105
	v_dual_fmac_f32 v49, 0x3f737871, v108 :: v_dual_add_f32 v112, v128, v131
	v_sub_f32_e32 v125, v114, v117
	v_fmamk_f32 v92, v106, 0x3f737871, v86
	v_dual_fmac_f32 v86, 0xbf737871, v106 :: v_dual_fmamk_f32 v93, v134, 0xbf737871, v87
	v_fmac_f32_e32 v87, 0x3f737871, v134
	v_fmac_f32_e32 v88, 0x3e9e377a, v119
	v_fmamk_f32 v95, v130, 0x3f737871, v101
	v_fmac_f32_e32 v101, 0xbf737871, v130
	v_fmac_f32_e32 v89, 0xbf167918, v105
	v_dual_fmac_f32 v90, 0x3f167918, v113 :: v_dual_add_f32 v97, v107, v111
	v_dual_fmac_f32 v100, 0xbf167918, v106 :: v_dual_fmac_f32 v91, 0xbf167918, v108
	v_fmac_f32_e32 v51, 0x3f167918, v108
	v_fmac_f32_e32 v48, 0xbf167918, v109
	;; [unrolled: 1-line block ×3, first 2 shown]
	v_dual_add_f32 v121, v122, v125 :: v_dual_fmac_f32 v94, 0x3f167918, v106
	s_delay_alu instid0(VALU_DEP_3)
	v_dual_add_f32 v99, v110, v114 :: v_dual_fmac_f32 v48, 0x3e9e377a, v119
	v_fmac_f32_e32 v86, 0xbf167918, v123
	v_fmac_f32_e32 v87, 0x3f167918, v130
	v_dual_fmac_f32 v101, 0x3f167918, v134 :: v_dual_fmac_f32 v92, 0x3f167918, v123
	v_fmac_f32_e32 v93, 0xbf167918, v130
	v_fmac_f32_e32 v95, 0xbf167918, v134
	v_dual_fmac_f32 v50, 0x3e9e377a, v137 :: v_dual_fmac_f32 v89, 0x3e9e377a, v116
	v_dual_add_f32 v97, v97, v115 :: v_dual_fmac_f32 v90, 0x3e9e377a, v137
	v_dual_fmac_f32 v91, 0x3e9e377a, v103 :: v_dual_fmac_f32 v86, 0x3e9e377a, v112
	v_dual_fmac_f32 v51, 0x3e9e377a, v103 :: v_dual_fmac_f32 v100, 0x3e9e377a, v118
	;; [unrolled: 1-line block ×3, first 2 shown]
	v_dual_add_f32 v99, v99, v117 :: v_dual_fmac_f32 v92, 0x3e9e377a, v112
	v_fmac_f32_e32 v87, 0x3e9e377a, v120
	v_fmac_f32_e32 v101, 0x3e9e377a, v121
	;; [unrolled: 1-line block ×4, first 2 shown]
	ds_store_b64 v76, v[88:89] offset:4000
	ds_store_b64 v76, v[90:91] offset:8000
	;; [unrolled: 1-line block ×4, first 2 shown]
	ds_store_2addr_b64 v76, v[96:97], v[98:99] offset1:250
	ds_store_b64 v76, v[92:93] offset:6000
	ds_store_b64 v76, v[94:95] offset:10000
	;; [unrolled: 1-line block ×4, first 2 shown]
	global_wb scope:SCOPE_SE
	s_wait_dscnt 0x0
	s_barrier_signal -1
	s_barrier_wait -1
	global_inv scope:SCOPE_SE
	s_clause 0x9
	global_load_b64 v[86:87], v76, s[8:9] offset:20000
	global_load_b64 v[88:89], v76, s[2:3] offset:2000
	;; [unrolled: 1-line block ×10, first 2 shown]
	ds_load_2addr_b64 v[48:51], v76 offset1:250
	s_mov_b32 s2, 0xeb1c432d
	s_mov_b32 s3, 0x3f3a36e2
	s_wait_loadcnt_dscnt 0x900
	v_mul_f32_e32 v91, v49, v87
	v_mul_f32_e32 v90, v48, v87
	s_wait_loadcnt 0x8
	v_mul_f32_e32 v92, v51, v89
	v_mul_f32_e32 v87, v50, v89
	v_fma_f32 v89, v48, v86, -v91
	v_fmac_f32_e32 v90, v49, v86
	s_delay_alu instid0(VALU_DEP_4) | instskip(NEXT) | instid1(VALU_DEP_4)
	v_fma_f32 v86, v50, v88, -v92
	v_fmac_f32_e32 v87, v51, v88
	ds_store_2addr_b64 v76, v[89:90], v[86:87] offset1:250
	ds_load_2addr_b64 v[48:51], v80 offset0:4 offset1:254
	ds_load_2addr_b64 v[86:89], v79 offset1:250
	ds_load_2addr_b64 v[90:93], v78 offset0:4 offset1:254
	ds_load_2addr_b64 v[94:97], v77 offset1:250
	s_wait_loadcnt_dscnt 0x703
	v_mul_f32_e32 v115, v49, v99
	v_mul_f32_e32 v114, v48, v99
	s_wait_loadcnt 0x6
	v_mul_f32_e32 v116, v51, v101
	v_mul_f32_e32 v99, v50, v101
	s_wait_loadcnt_dscnt 0x502
	v_mul_f32_e32 v117, v87, v103
	s_wait_loadcnt 0x4
	v_dual_mul_f32 v101, v86, v103 :: v_dual_mul_f32 v118, v89, v105
	v_mul_f32_e32 v103, v88, v105
	s_wait_loadcnt_dscnt 0x301
	v_mul_f32_e32 v119, v91, v107
	s_wait_loadcnt 0x2
	v_dual_mul_f32 v105, v90, v107 :: v_dual_mul_f32 v120, v93, v109
	;; [unrolled: 5-line block ×3, first 2 shown]
	v_mul_f32_e32 v111, v96, v113
	v_fma_f32 v113, v48, v98, -v115
	v_fmac_f32_e32 v114, v49, v98
	v_fma_f32 v98, v50, v100, -v116
	v_fmac_f32_e32 v99, v51, v100
	;; [unrolled: 2-line block ×8, first 2 shown]
	ds_store_2addr_b64 v80, v[113:114], v[98:99] offset0:4 offset1:254
	ds_store_2addr_b64 v79, v[100:101], v[102:103] offset1:250
	ds_store_2addr_b64 v78, v[104:105], v[106:107] offset0:4 offset1:254
	ds_store_2addr_b64 v77, v[108:109], v[110:111] offset1:250
	global_wb scope:SCOPE_SE
	s_wait_dscnt 0x0
	s_barrier_signal -1
	s_barrier_wait -1
	global_inv scope:SCOPE_SE
	ds_load_2addr_b64 v[48:51], v76 offset1:250
	ds_load_2addr_b64 v[86:89], v80 offset0:4 offset1:254
	ds_load_2addr_b64 v[90:93], v79 offset1:250
	ds_load_2addr_b64 v[94:97], v78 offset0:4 offset1:254
	ds_load_2addr_b64 v[98:101], v77 offset1:250
	global_wb scope:SCOPE_SE
	s_wait_dscnt 0x0
	s_barrier_signal -1
	s_barrier_wait -1
	global_inv scope:SCOPE_SE
	v_add_f32_e32 v110, v51, v89
	v_sub_f32_e32 v112, v87, v91
	v_dual_sub_f32 v113, v91, v87 :: v_dual_add_f32 v114, v92, v96
	v_sub_f32_e32 v122, v87, v99
	v_add_f32_e32 v107, v49, v87
	v_add_f32_e32 v87, v87, v99
	v_dual_sub_f32 v104, v91, v95 :: v_dual_sub_f32 v111, v90, v94
	v_sub_f32_e32 v116, v88, v92
	v_dual_add_f32 v118, v93, v97 :: v_dual_sub_f32 v119, v92, v96
	v_sub_f32_e32 v120, v89, v93
	v_sub_f32_e32 v121, v93, v89
	;; [unrolled: 1-line block ×4, first 2 shown]
	v_add_f32_e32 v109, v50, v88
	v_dual_sub_f32 v130, v100, v96 :: v_dual_add_f32 v93, v110, v93
	v_fma_f32 v110, -0.5, v87, v49
	v_fma_f32 v87, -0.5, v114, v50
	v_add_f32_e32 v103, v90, v94
	v_add_f32_e32 v102, v48, v86
	v_sub_f32_e32 v117, v92, v88
	v_add_f32_e32 v92, v109, v92
	v_dual_add_f32 v114, v116, v130 :: v_dual_add_f32 v89, v89, v101
	v_fma_f32 v103, -0.5, v103, v48
	v_sub_f32_e32 v105, v86, v90
	v_sub_f32_e32 v106, v90, v86
	v_add_f32_e32 v108, v91, v95
	v_sub_f32_e32 v126, v98, v94
	v_add_f32_e32 v90, v102, v90
	v_fma_f32 v102, -0.5, v118, v51
	v_fmac_f32_e32 v51, -0.5, v89
	v_dual_add_f32 v89, v92, v96 :: v_dual_fmamk_f32 v92, v122, 0xbf737871, v103
	v_sub_f32_e32 v128, v99, v95
	v_fma_f32 v108, -0.5, v108, v49
	v_sub_f32_e32 v132, v101, v97
	s_delay_alu instid0(VALU_DEP_4)
	v_add_f32_e32 v89, v89, v100
	v_fmac_f32_e32 v92, 0xbf167918, v104
	v_dual_fmamk_f32 v118, v111, 0xbf737871, v110 :: v_dual_add_f32 v105, v105, v126
	v_add_f32_e32 v123, v86, v98
	v_sub_f32_e32 v86, v86, v98
	v_dual_fmac_f32 v110, 0x3f737871, v111 :: v_dual_add_f32 v125, v88, v100
	v_sub_f32_e32 v88, v88, v100
	v_sub_f32_e32 v131, v96, v100
	v_dual_add_f32 v112, v112, v128 :: v_dual_sub_f32 v133, v97, v101
	v_fmac_f32_e32 v92, 0x3e9e377a, v105
	v_fma_f32 v109, -0.5, v123, v48
	v_add_f32_e32 v48, v90, v94
	v_add_f32_e32 v90, v93, v97
	v_fmamk_f32 v96, v88, 0x3f737871, v102
	v_fmamk_f32 v97, v86, 0x3f737871, v108
	v_fmac_f32_e32 v108, 0xbf737871, v86
	v_fmac_f32_e32 v118, 0x3f167918, v86
	;; [unrolled: 1-line block ×3, first 2 shown]
	v_fma_f32 v50, -0.5, v125, v50
	v_sub_f32_e32 v129, v95, v99
	v_fmac_f32_e32 v108, 0xbf167918, v111
	v_fmac_f32_e32 v96, 0x3f167918, v119
	v_dual_add_f32 v116, v117, v131 :: v_dual_add_f32 v117, v120, v132
	v_dual_add_f32 v91, v107, v91 :: v_dual_fmac_f32 v102, 0xbf737871, v88
	v_add_f32_e32 v90, v90, v101
	v_fmac_f32_e32 v108, 0x3e9e377a, v112
	s_delay_alu instid0(VALU_DEP_3) | instskip(SKIP_4) | instid1(VALU_DEP_4)
	v_dual_fmac_f32 v96, 0x3e9e377a, v117 :: v_dual_add_f32 v49, v91, v95
	v_fmamk_f32 v95, v115, 0x3f737871, v50
	v_dual_fmac_f32 v50, 0xbf737871, v115 :: v_dual_fmamk_f32 v91, v119, 0xbf737871, v51
	v_fmac_f32_e32 v102, 0xbf167918, v119
	v_fmamk_f32 v93, v104, 0x3f737871, v109
	v_fmac_f32_e32 v95, 0xbf167918, v124
	s_delay_alu instid0(VALU_DEP_4) | instskip(SKIP_1) | instid1(VALU_DEP_4)
	v_dual_fmac_f32 v50, 0x3f167918, v124 :: v_dual_sub_f32 v127, v94, v98
	v_dual_add_f32 v98, v48, v98 :: v_dual_fmac_f32 v91, 0x3f167918, v88
	v_fmac_f32_e32 v93, 0xbf167918, v122
	s_delay_alu instid0(VALU_DEP_4) | instskip(NEXT) | instid1(VALU_DEP_4)
	v_fmac_f32_e32 v95, 0x3e9e377a, v116
	v_fmac_f32_e32 v50, 0x3e9e377a, v116
	s_delay_alu instid0(VALU_DEP_4) | instskip(SKIP_4) | instid1(VALU_DEP_4)
	v_add_f32_e32 v48, v98, v89
	v_dual_add_f32 v113, v113, v129 :: v_dual_add_f32 v106, v106, v127
	v_fmac_f32_e32 v103, 0x3f737871, v122
	v_fmamk_f32 v94, v124, 0xbf737871, v87
	v_fmac_f32_e32 v109, 0xbf737871, v104
	v_fmac_f32_e32 v118, 0x3e9e377a, v113
	;; [unrolled: 1-line block ×3, first 2 shown]
	v_add_f32_e32 v107, v121, v133
	v_fmac_f32_e32 v93, 0x3e9e377a, v106
	v_fmac_f32_e32 v94, 0xbf167918, v115
	s_delay_alu instid0(VALU_DEP_4) | instskip(NEXT) | instid1(VALU_DEP_4)
	v_mul_f32_e32 v100, 0xbf167918, v102
	v_fmac_f32_e32 v91, 0x3e9e377a, v107
	v_mul_f32_e32 v102, 0xbf4f1bbd, v102
	v_fmac_f32_e32 v103, 0x3f167918, v104
	v_fmac_f32_e32 v94, 0x3e9e377a, v114
	s_delay_alu instid0(VALU_DEP_4) | instskip(SKIP_2) | instid1(VALU_DEP_4)
	v_mul_f32_e32 v86, 0xbf737871, v91
	v_mul_f32_e32 v104, 0x3e9e377a, v91
	v_fmac_f32_e32 v110, 0x3e9e377a, v113
	v_mul_f32_e32 v101, 0x3f167918, v94
	s_delay_alu instid0(VALU_DEP_4) | instskip(SKIP_2) | instid1(VALU_DEP_4)
	v_fmac_f32_e32 v86, 0x3e9e377a, v95
	v_fmac_f32_e32 v51, 0x3f737871, v119
	;; [unrolled: 1-line block ×5, first 2 shown]
	s_delay_alu instid0(VALU_DEP_4) | instskip(NEXT) | instid1(VALU_DEP_2)
	v_dual_fmac_f32 v51, 0xbf167918, v88 :: v_dual_sub_f32 v88, v98, v89
	v_add_f32_e32 v95, v118, v104
	s_delay_alu instid0(VALU_DEP_2) | instskip(NEXT) | instid1(VALU_DEP_1)
	v_fmac_f32_e32 v51, 0x3e9e377a, v107
	v_mul_f32_e32 v98, 0xbf737871, v51
	s_delay_alu instid0(VALU_DEP_1) | instskip(NEXT) | instid1(VALU_DEP_1)
	v_dual_add_f32 v99, v49, v99 :: v_dual_fmac_f32 v98, 0xbe9e377a, v50
	v_add_f32_e32 v49, v99, v90
	v_sub_f32_e32 v89, v99, v90
	v_mul_f32_e32 v99, 0xbe9e377a, v51
	v_mul_f32_e32 v51, 0xbf167918, v96
	s_delay_alu instid0(VALU_DEP_2) | instskip(NEXT) | instid1(VALU_DEP_2)
	v_fmac_f32_e32 v99, 0x3f737871, v50
	v_fmac_f32_e32 v51, 0x3f4f1bbd, v94
	v_dual_add_f32 v94, v93, v86 :: v_dual_fmac_f32 v87, 0x3f167918, v115
	s_delay_alu instid0(VALU_DEP_2) | instskip(NEXT) | instid1(VALU_DEP_2)
	v_add_f32_e32 v50, v92, v51
	v_dual_sub_f32 v90, v92, v51 :: v_dual_fmac_f32 v87, 0x3e9e377a, v114
	v_sub_f32_e32 v92, v93, v86
	v_fmac_f32_e32 v109, 0x3f167918, v122
	s_delay_alu instid0(VALU_DEP_3) | instskip(SKIP_2) | instid1(VALU_DEP_4)
	v_dual_sub_f32 v93, v118, v104 :: v_dual_fmac_f32 v100, 0xbf4f1bbd, v87
	v_fmac_f32_e32 v102, 0x3f167918, v87
	v_fmac_f32_e32 v103, 0x3e9e377a, v105
	;; [unrolled: 1-line block ×3, first 2 shown]
	s_delay_alu instid0(VALU_DEP_2) | instskip(NEXT) | instid1(VALU_DEP_2)
	v_dual_add_f32 v87, v108, v102 :: v_dual_add_f32 v86, v103, v100
	v_dual_fmac_f32 v97, 0x3f167918, v111 :: v_dual_add_f32 v96, v109, v98
	v_sub_f32_e32 v98, v109, v98
	v_sub_f32_e32 v100, v103, v100
	s_delay_alu instid0(VALU_DEP_3) | instskip(NEXT) | instid1(VALU_DEP_1)
	v_fmac_f32_e32 v97, 0x3e9e377a, v112
	v_add_f32_e32 v51, v97, v101
	v_sub_f32_e32 v91, v97, v101
	v_add_f32_e32 v97, v110, v99
	v_sub_f32_e32 v99, v110, v99
	v_sub_f32_e32 v101, v108, v102
	ds_store_b128 v84, v[48:51]
	ds_store_b128 v84, v[94:97] offset:16
	ds_store_b128 v84, v[86:89] offset:32
	;; [unrolled: 1-line block ×4, first 2 shown]
	global_wb scope:SCOPE_SE
	s_wait_dscnt 0x0
	s_barrier_signal -1
	s_barrier_wait -1
	global_inv scope:SCOPE_SE
	ds_load_2addr_b64 v[48:51], v80 offset0:4 offset1:254
	ds_load_2addr_b64 v[86:89], v79 offset1:250
	ds_load_2addr_b64 v[90:93], v78 offset0:4 offset1:254
	ds_load_2addr_b64 v[94:97], v77 offset1:250
	ds_load_2addr_b64 v[98:101], v76 offset1:250
	global_wb scope:SCOPE_SE
	s_wait_dscnt 0x0
	s_barrier_signal -1
	s_barrier_wait -1
	global_inv scope:SCOPE_SE
	v_mul_f32_e32 v105, v21, v51
	v_mul_f32_e32 v21, v21, v50
	;; [unrolled: 1-line block ×3, first 2 shown]
	v_dual_mul_f32 v29, v29, v48 :: v_dual_mul_f32 v102, v31, v87
	s_delay_alu instid0(VALU_DEP_4) | instskip(NEXT) | instid1(VALU_DEP_4)
	v_fmac_f32_e32 v105, v20, v50
	v_fma_f32 v20, v20, v51, -v21
	v_mul_f32_e32 v31, v31, v86
	v_mul_f32_e32 v106, v23, v89
	;; [unrolled: 1-line block ×3, first 2 shown]
	v_fmac_f32_e32 v84, v28, v48
	v_fma_f32 v28, v28, v49, -v29
	v_add_f32_e32 v110, v101, v20
	v_fma_f32 v29, v30, v87, -v31
	v_mul_f32_e32 v104, v27, v95
	v_fmac_f32_e32 v102, v30, v86
	v_dual_fmac_f32 v106, v22, v88 :: v_dual_mul_f32 v103, v25, v91
	v_fma_f32 v21, v22, v89, -v23
	v_dual_mul_f32 v27, v27, v94 :: v_dual_sub_f32 v86, v28, v29
	v_dual_mul_f32 v25, v25, v90 :: v_dual_mul_f32 v108, v19, v97
	s_delay_alu instid0(VALU_DEP_3) | instskip(NEXT) | instid1(VALU_DEP_3)
	v_sub_f32_e32 v116, v21, v20
	v_fma_f32 v31, v26, v95, -v27
	v_fmac_f32_e32 v104, v26, v94
	s_delay_alu instid0(VALU_DEP_4) | instskip(SKIP_1) | instid1(VALU_DEP_4)
	v_fma_f32 v25, v24, v91, -v25
	v_fmac_f32_e32 v108, v18, v96
	v_dual_sub_f32 v23, v102, v84 :: v_dual_sub_f32 v48, v28, v31
	s_delay_alu instid0(VALU_DEP_3) | instskip(SKIP_2) | instid1(VALU_DEP_3)
	v_dual_fmac_f32 v103, v24, v90 :: v_dual_sub_f32 v50, v29, v25
	v_mul_f32_e32 v19, v19, v96
	v_dual_add_f32 v22, v84, v104 :: v_dual_mul_f32 v107, v17, v93
	v_sub_f32_e32 v24, v103, v104
	v_add_f32_e32 v26, v99, v28
	s_delay_alu instid0(VALU_DEP_4) | instskip(SKIP_4) | instid1(VALU_DEP_3)
	v_fma_f32 v49, v18, v97, -v19
	v_sub_f32_e32 v18, v84, v102
	v_sub_f32_e32 v19, v104, v103
	v_dual_add_f32 v119, v23, v24 :: v_dual_add_f32 v88, v28, v31
	v_dual_sub_f32 v94, v105, v106 :: v_dual_sub_f32 v87, v31, v25
	v_add_f32_e32 v118, v18, v19
	v_fma_f32 v18, -0.5, v22, v98
	v_mul_f32_e32 v17, v17, v92
	v_fma_f32 v19, -0.5, v88, v99
	v_sub_f32_e32 v28, v29, v28
	s_delay_alu instid0(VALU_DEP_4) | instskip(NEXT) | instid1(VALU_DEP_4)
	v_dual_sub_f32 v89, v25, v31 :: v_dual_fmamk_f32 v24, v50, 0x3f737871, v18
	v_fma_f32 v27, v16, v93, -v17
	v_fmac_f32_e32 v18, 0xbf737871, v50
	v_add_f32_e32 v86, v86, v87
	v_add_f32_e32 v30, v29, v25
	s_delay_alu instid0(VALU_DEP_4) | instskip(SKIP_4) | instid1(VALU_DEP_4)
	v_dual_fmac_f32 v24, 0xbf167918, v48 :: v_dual_sub_f32 v93, v21, v27
	v_fmac_f32_e32 v107, v16, v92
	v_dual_add_f32 v23, v26, v29 :: v_dual_fmac_f32 v18, 0x3f167918, v48
	v_sub_f32_e32 v92, v20, v49
	v_sub_f32_e32 v113, v20, v21
	;; [unrolled: 1-line block ×3, first 2 shown]
	v_add_f32_e32 v91, v106, v107
	v_add_f32_e32 v115, v20, v49
	v_dual_add_f32 v87, v28, v89 :: v_dual_add_f32 v16, v98, v84
	s_delay_alu instid0(VALU_DEP_4)
	v_add_f32_e32 v88, v94, v95
	v_add_f32_e32 v94, v23, v25
	;; [unrolled: 1-line block ×4, first 2 shown]
	v_fma_f32 v20, -0.5, v91, v100
	v_add_f32_e32 v17, v102, v103
	v_sub_f32_e32 v114, v49, v27
	v_add_f32_e32 v26, v90, v106
	v_fma_f32 v100, -0.5, v96, v100
	s_delay_alu instid0(VALU_DEP_1) | instskip(NEXT) | instid1(VALU_DEP_3)
	v_dual_add_f32 v31, v94, v31 :: v_dual_fmamk_f32 v28, v93, 0x3f737871, v100
	v_dual_add_f32 v95, v26, v107 :: v_dual_fmamk_f32 v26, v92, 0xbf737871, v20
	v_dual_fmac_f32 v20, 0x3f737871, v92 :: v_dual_add_f32 v111, v21, v27
	v_sub_f32_e32 v97, v106, v105
	s_delay_alu instid0(VALU_DEP_3) | instskip(NEXT) | instid1(VALU_DEP_3)
	v_dual_sub_f32 v109, v107, v108 :: v_dual_fmac_f32 v26, 0xbf167918, v93
	v_fmac_f32_e32 v20, 0x3f167918, v93
	v_add_f32_e32 v29, v110, v21
	v_fmac_f32_e32 v100, 0xbf737871, v93
	v_fma_f32 v21, -0.5, v111, v101
	v_sub_f32_e32 v112, v106, v107
	v_fmac_f32_e32 v20, 0x3e9e377a, v88
	v_dual_sub_f32 v51, v84, v104 :: v_dual_add_f32 v96, v29, v27
	v_sub_f32_e32 v84, v102, v103
	v_add_f32_e32 v102, v16, v102
	v_fma_f32 v16, -0.5, v17, v98
	v_fma_f32 v17, -0.5, v30, v99
	v_fmac_f32_e32 v100, 0x3f167918, v92
	v_fmac_f32_e32 v26, 0x3e9e377a, v88
	v_fmamk_f32 v25, v84, 0xbf737871, v19
	v_fmamk_f32 v22, v48, 0xbf737871, v16
	v_fmac_f32_e32 v16, 0x3f737871, v48
	v_dual_add_f32 v48, v95, v108 :: v_dual_add_f32 v89, v97, v109
	s_delay_alu instid0(VALU_DEP_3)
	v_dual_fmac_f32 v101, -0.5, v115 :: v_dual_fmac_f32 v22, 0xbf167918, v50
	v_sub_f32_e32 v105, v105, v108
	v_fmamk_f32 v23, v51, 0x3f737871, v17
	v_fmac_f32_e32 v19, 0x3f737871, v84
	v_fmac_f32_e32 v17, 0xbf737871, v51
	v_dual_fmac_f32 v16, 0x3f167918, v50 :: v_dual_sub_f32 v117, v27, v49
	v_fmac_f32_e32 v22, 0x3e9e377a, v118
	v_fmamk_f32 v27, v105, 0x3f737871, v21
	v_fmac_f32_e32 v21, 0xbf737871, v105
	v_fmac_f32_e32 v100, 0x3e9e377a, v89
	v_fmamk_f32 v29, v112, 0xbf737871, v101
	v_dual_fmac_f32 v101, 0x3f737871, v112 :: v_dual_add_f32 v30, v102, v103
	v_fmac_f32_e32 v23, 0x3f167918, v84
	v_fmac_f32_e32 v25, 0x3f167918, v51
	v_dual_fmac_f32 v19, 0xbf167918, v51 :: v_dual_fmac_f32 v28, 0xbf167918, v92
	v_dual_fmac_f32 v17, 0xbf167918, v84 :: v_dual_add_f32 v90, v113, v114
	v_fmac_f32_e32 v27, 0x3f167918, v112
	v_fmac_f32_e32 v21, 0xbf167918, v112
	;; [unrolled: 1-line block ×4, first 2 shown]
	v_dual_fmac_f32 v16, 0x3e9e377a, v118 :: v_dual_add_f32 v91, v116, v117
	v_dual_add_f32 v30, v30, v104 :: v_dual_fmac_f32 v23, 0x3e9e377a, v86
	v_fmac_f32_e32 v28, 0x3e9e377a, v89
	v_fmac_f32_e32 v24, 0x3e9e377a, v119
	;; [unrolled: 1-line block ×6, first 2 shown]
	v_add_f32_e32 v49, v96, v49
	v_fmac_f32_e32 v27, 0x3e9e377a, v90
	v_fmac_f32_e32 v21, 0x3e9e377a, v90
	v_fmac_f32_e32 v29, 0x3e9e377a, v91
	v_fmac_f32_e32 v101, 0x3e9e377a, v91
	ds_store_2addr_b64 v83, v[30:31], v[22:23] offset1:10
	ds_store_2addr_b64 v83, v[24:25], v[18:19] offset0:20 offset1:30
	ds_store_b64 v83, v[16:17] offset:320
	ds_store_2addr_b64 v82, v[48:49], v[26:27] offset1:10
	ds_store_2addr_b64 v82, v[28:29], v[100:101] offset0:20 offset1:30
	ds_store_b64 v82, v[20:21] offset:320
	global_wb scope:SCOPE_SE
	s_wait_dscnt 0x0
	s_barrier_signal -1
	s_barrier_wait -1
	global_inv scope:SCOPE_SE
	ds_load_2addr_b64 v[16:19], v76 offset1:250
	ds_load_2addr_b64 v[20:23], v80 offset0:4 offset1:254
	ds_load_2addr_b64 v[24:27], v79 offset1:250
	ds_load_2addr_b64 v[28:31], v78 offset0:4 offset1:254
	ds_load_2addr_b64 v[48:51], v77 offset1:250
	global_wb scope:SCOPE_SE
	s_wait_dscnt 0x0
	s_barrier_signal -1
	s_barrier_wait -1
	global_inv scope:SCOPE_SE
	v_mul_f32_e32 v82, v13, v19
	v_mul_f32_e32 v84, v9, v23
	;; [unrolled: 1-line block ×5, first 2 shown]
	v_dual_mul_f32 v91, v74, v51 :: v_dual_mul_f32 v90, v3, v49
	v_dual_mul_f32 v3, v3, v48 :: v_dual_fmac_f32 v84, v8, v22
	v_fmac_f32_e32 v87, v4, v26
	v_fmac_f32_e32 v89, v0, v30
	v_fma_f32 v0, v0, v31, -v1
	v_fmac_f32_e32 v91, v73, v50
	v_mul_f32_e32 v74, v74, v50
	v_fmac_f32_e32 v90, v2, v48
	v_fma_f32 v1, v2, v49, -v3
	s_delay_alu instid0(VALU_DEP_4) | instskip(SKIP_4) | instid1(VALU_DEP_4)
	v_dual_sub_f32 v48, v84, v87 :: v_dual_sub_f32 v49, v91, v89
	v_mul_f32_e32 v9, v9, v22
	v_fma_f32 v2, v73, v51, -v74
	v_dual_mul_f32 v5, v5, v26 :: v_dual_mul_f32 v88, v7, v29
	v_mul_f32_e32 v86, v11, v25
	v_fma_f32 v8, v8, v23, -v9
	v_fmac_f32_e32 v82, v12, v18
	s_delay_alu instid0(VALU_DEP_4) | instskip(SKIP_1) | instid1(VALU_DEP_4)
	v_fma_f32 v4, v4, v27, -v5
	v_dual_add_f32 v50, v84, v91 :: v_dual_mul_f32 v11, v11, v24
	v_add_f32_e32 v95, v8, v2
	v_mul_f32_e32 v7, v7, v28
	v_dual_mul_f32 v83, v15, v21 :: v_dual_sub_f32 v96, v0, v2
	s_delay_alu instid0(VALU_DEP_4) | instskip(SKIP_1) | instid1(VALU_DEP_4)
	v_fma_f32 v9, v10, v25, -v11
	v_fmac_f32_e32 v88, v6, v28
	v_fma_f32 v5, v6, v29, -v7
	v_add_f32_e32 v28, v82, v84
	v_mul_f32_e32 v15, v15, v20
	v_sub_f32_e32 v31, v4, v0
	v_fmac_f32_e32 v83, v14, v20
	v_sub_f32_e32 v25, v1, v5
	v_dual_mul_f32 v13, v13, v18 :: v_dual_fmac_f32 v86, v10, v24
	s_delay_alu instid0(VALU_DEP_3) | instskip(SKIP_1) | instid1(VALU_DEP_3)
	v_dual_sub_f32 v10, v9, v5 :: v_dual_add_f32 v3, v16, v83
	v_sub_f32_e32 v30, v8, v2
	v_fma_f32 v12, v12, v19, -v13
	v_fma_f32 v13, v14, v21, -v15
	v_dual_add_f32 v6, v86, v88 :: v_dual_sub_f32 v11, v83, v86
	v_sub_f32_e32 v14, v90, v88
	v_sub_f32_e32 v18, v86, v83
	s_delay_alu instid0(VALU_DEP_4)
	v_dual_add_f32 v20, v17, v13 :: v_dual_sub_f32 v23, v86, v88
	v_sub_f32_e32 v19, v88, v90
	v_add_f32_e32 v29, v87, v89
	v_sub_f32_e32 v7, v13, v1
	v_add_f32_e32 v21, v9, v5
	;; [unrolled: 2-line block ×4, first 2 shown]
	v_dual_add_f32 v20, v48, v49 :: v_dual_add_f32 v3, v3, v86
	v_fma_f32 v86, -0.5, v6, v16
	v_dual_add_f32 v6, v11, v14 :: v_dual_add_f32 v11, v18, v19
	v_fma_f32 v18, -0.5, v29, v82
	v_fmac_f32_e32 v82, -0.5, v50
	v_add_f32_e32 v74, v12, v8
	v_sub_f32_e32 v94, v2, v0
	v_fma_f32 v19, -0.5, v21, v17
	v_fma_f32 v17, -0.5, v26, v17
	v_fmamk_f32 v48, v31, 0x3f737871, v82
	v_add_f32_e32 v15, v83, v90
	v_sub_f32_e32 v27, v5, v1
	v_dual_add_f32 v5, v9, v5 :: v_dual_fmac_f32 v82, 0xbf737871, v31
	v_sub_f32_e32 v22, v83, v90
	s_delay_alu instid0(VALU_DEP_4) | instskip(SKIP_3) | instid1(VALU_DEP_3)
	v_fma_f32 v15, -0.5, v15, v16
	v_add_f32_e32 v16, v28, v87
	v_dual_fmac_f32 v48, 0xbf167918, v30 :: v_dual_sub_f32 v93, v8, v4
	v_sub_f32_e32 v8, v4, v8
	v_dual_fmac_f32 v82, 0x3f167918, v30 :: v_dual_add_f32 v9, v16, v89
	v_dual_fmamk_f32 v16, v30, 0xbf737871, v18 :: v_dual_sub_f32 v51, v87, v84
	v_sub_f32_e32 v92, v87, v89
	s_delay_alu instid0(VALU_DEP_4) | instskip(SKIP_1) | instid1(VALU_DEP_4)
	v_add_f32_e32 v8, v8, v96
	v_fmac_f32_e32 v18, 0x3f737871, v30
	v_fmac_f32_e32 v16, 0xbf167918, v31
	v_add_f32_e32 v14, v24, v25
	v_add_f32_e32 v83, v4, v0
	;; [unrolled: 1-line block ×3, first 2 shown]
	v_fmamk_f32 v28, v22, 0x3f737871, v19
	v_fmac_f32_e32 v16, 0x3e9e377a, v20
	s_delay_alu instid0(VALU_DEP_4) | instskip(SKIP_3) | instid1(VALU_DEP_3)
	v_fma_f32 v24, -0.5, v83, v12
	v_fmac_f32_e32 v12, -0.5, v95
	v_add_f32_e32 v0, v4, v0
	v_sub_f32_e32 v84, v84, v91
	v_fmamk_f32 v49, v92, 0xbf737871, v12
	v_fmac_f32_e32 v12, 0x3f737871, v92
	s_delay_alu instid0(VALU_DEP_3) | instskip(SKIP_4) | instid1(VALU_DEP_4)
	v_fmamk_f32 v4, v84, 0x3f737871, v24
	v_fmamk_f32 v26, v7, 0xbf737871, v86
	v_fmac_f32_e32 v86, 0x3f737871, v7
	v_fmac_f32_e32 v24, 0xbf737871, v84
	v_dual_fmac_f32 v12, 0xbf167918, v84 :: v_dual_sub_f32 v73, v89, v91
	v_fmac_f32_e32 v26, 0xbf167918, v10
	s_delay_alu instid0(VALU_DEP_4) | instskip(NEXT) | instid1(VALU_DEP_4)
	v_fmac_f32_e32 v86, 0x3f167918, v10
	v_fmac_f32_e32 v24, 0xbf167918, v92
	;; [unrolled: 1-line block ×3, first 2 shown]
	s_delay_alu instid0(VALU_DEP_4) | instskip(SKIP_3) | instid1(VALU_DEP_3)
	v_dual_add_f32 v3, v3, v88 :: v_dual_fmac_f32 v26, 0x3e9e377a, v6
	v_fmac_f32_e32 v18, 0x3f167918, v31
	v_fmac_f32_e32 v12, 0x3e9e377a, v8
	v_dual_fmac_f32 v86, 0x3e9e377a, v6 :: v_dual_add_f32 v21, v51, v73
	v_dual_add_f32 v3, v3, v90 :: v_dual_fmac_f32 v18, 0x3e9e377a, v20
	s_delay_alu instid0(VALU_DEP_3) | instskip(NEXT) | instid1(VALU_DEP_3)
	v_dual_mul_f32 v20, 0xbf737871, v12 :: v_dual_add_f32 v13, v13, v27
	v_fmac_f32_e32 v82, 0x3e9e377a, v21
	v_fmamk_f32 v27, v10, 0x3f737871, v15
	v_fmac_f32_e32 v19, 0xbf737871, v22
	v_dual_fmac_f32 v49, 0x3f167918, v84 :: v_dual_fmac_f32 v28, 0x3f167918, v23
	v_fmac_f32_e32 v48, 0x3e9e377a, v21
	s_delay_alu instid0(VALU_DEP_4) | instskip(SKIP_1) | instid1(VALU_DEP_4)
	v_fmac_f32_e32 v27, 0xbf167918, v7
	v_fmac_f32_e32 v20, 0xbe9e377a, v82
	;; [unrolled: 1-line block ×4, first 2 shown]
	s_delay_alu instid0(VALU_DEP_4) | instskip(SKIP_1) | instid1(VALU_DEP_1)
	v_dual_fmac_f32 v28, 0x3e9e377a, v14 :: v_dual_fmac_f32 v27, 0x3e9e377a, v11
	v_fmac_f32_e32 v19, 0xbf167918, v23
	v_fmac_f32_e32 v19, 0x3e9e377a, v14
	v_mul_f32_e32 v14, 0xbf737871, v49
	v_fmac_f32_e32 v15, 0x3f167918, v7
	v_add_f32_e32 v7, v9, v91
	s_delay_alu instid0(VALU_DEP_3) | instskip(NEXT) | instid1(VALU_DEP_2)
	v_dual_add_f32 v9, v0, v2 :: v_dual_fmac_f32 v14, 0x3e9e377a, v48
	v_dual_add_f32 v25, v93, v94 :: v_dual_add_f32 v0, v3, v7
	s_delay_alu instid0(VALU_DEP_2) | instskip(NEXT) | instid1(VALU_DEP_2)
	v_add_f32_e32 v6, v27, v14
	v_fmac_f32_e32 v24, 0x3e9e377a, v25
	v_fmac_f32_e32 v4, 0x3e9e377a, v25
	v_dual_mul_f32 v25, 0xbe9e377a, v12 :: v_dual_sub_f32 v2, v3, v7
	s_delay_alu instid0(VALU_DEP_3) | instskip(SKIP_1) | instid1(VALU_DEP_3)
	v_dual_sub_f32 v14, v27, v14 :: v_dual_mul_f32 v21, 0xbf167918, v24
	v_mul_f32_e32 v24, 0xbf4f1bbd, v24
	v_fmac_f32_e32 v25, 0x3f737871, v82
	s_delay_alu instid0(VALU_DEP_3) | instskip(SKIP_4) | instid1(VALU_DEP_4)
	v_fmac_f32_e32 v21, 0xbf4f1bbd, v18
	v_fmamk_f32 v29, v23, 0xbf737871, v17
	v_fmac_f32_e32 v17, 0x3f737871, v23
	v_fmac_f32_e32 v24, 0x3f167918, v18
	v_mul_f32_e32 v23, 0x3e9e377a, v49
	v_dual_add_f32 v10, v86, v21 :: v_dual_fmac_f32 v29, 0x3f167918, v22
	s_delay_alu instid0(VALU_DEP_4) | instskip(SKIP_1) | instid1(VALU_DEP_3)
	v_dual_fmac_f32 v17, 0xbf167918, v22 :: v_dual_sub_f32 v18, v86, v21
	v_dual_mul_f32 v22, 0x3f4f1bbd, v4 :: v_dual_add_f32 v5, v5, v1
	v_fmac_f32_e32 v29, 0x3e9e377a, v13
	s_delay_alu instid0(VALU_DEP_3) | instskip(SKIP_1) | instid1(VALU_DEP_4)
	v_fmac_f32_e32 v17, 0x3e9e377a, v13
	v_mul_f32_e32 v13, 0xbf167918, v4
	v_fmac_f32_e32 v22, 0x3f167918, v16
	v_fmac_f32_e32 v15, 0x3e9e377a, v11
	v_fmac_f32_e32 v23, 0x3f737871, v48
	v_add_f32_e32 v1, v5, v9
	v_fmac_f32_e32 v13, 0x3f4f1bbd, v16
	v_sub_f32_e32 v3, v5, v9
	v_dual_add_f32 v5, v28, v22 :: v_dual_add_f32 v8, v15, v20
	s_delay_alu instid0(VALU_DEP_3)
	v_dual_add_f32 v7, v29, v23 :: v_dual_add_f32 v4, v26, v13
	v_add_f32_e32 v9, v17, v25
	v_dual_add_f32 v11, v19, v24 :: v_dual_sub_f32 v12, v26, v13
	v_dual_sub_f32 v16, v15, v20 :: v_dual_sub_f32 v13, v28, v22
	v_sub_f32_e32 v15, v29, v23
	v_sub_f32_e32 v17, v17, v25
	;; [unrolled: 1-line block ×3, first 2 shown]
	ds_store_2addr_b64 v81, v[0:1], v[4:5] offset1:50
	ds_store_2addr_b64 v81, v[6:7], v[8:9] offset0:100 offset1:150
	ds_store_2addr_b64 v81, v[10:11], v[2:3] offset0:200 offset1:250
	;; [unrolled: 1-line block ×4, first 2 shown]
	global_wb scope:SCOPE_SE
	s_wait_dscnt 0x0
	s_barrier_signal -1
	s_barrier_wait -1
	global_inv scope:SCOPE_SE
	ds_load_2addr_b64 v[0:3], v80 offset0:4 offset1:254
	ds_load_2addr_b64 v[4:7], v79 offset1:250
	ds_load_2addr_b64 v[8:11], v78 offset0:4 offset1:254
	ds_load_2addr_b64 v[12:15], v77 offset1:250
	ds_load_2addr_b64 v[16:19], v76 offset1:250
	s_wait_dscnt 0x4
	v_mul_f32_e32 v20, v45, v1
	s_wait_dscnt 0x3
	v_mul_f32_e32 v22, v47, v5
	;; [unrolled: 2-line block ×4, first 2 shown]
	v_mul_f32_e32 v28, v37, v3
	v_dual_mul_f32 v29, v37, v2 :: v_dual_mul_f32 v30, v39, v7
	v_fmac_f32_e32 v20, v44, v0
	v_dual_fmac_f32 v22, v46, v4 :: v_dual_mul_f32 v37, v33, v11
	v_fmac_f32_e32 v24, v40, v8
	v_dual_fmac_f32 v26, v42, v12 :: v_dual_mul_f32 v33, v33, v10
	v_fmac_f32_e32 v30, v38, v6
	s_delay_alu instid0(VALU_DEP_4)
	v_fmac_f32_e32 v37, v32, v10
	v_mul_f32_e32 v27, v43, v12
	v_sub_f32_e32 v10, v22, v20
	v_sub_f32_e32 v12, v24, v26
	v_mul_f32_e32 v31, v39, v6
	v_dual_mul_f32 v39, v35, v15 :: v_dual_fmac_f32 v28, v36, v2
	v_fma_f32 v11, v32, v11, -v33
	v_sub_f32_e32 v48, v30, v37
	v_add_f32_e32 v82, v10, v12
	s_delay_alu instid0(VALU_DEP_4) | instskip(SKIP_3) | instid1(VALU_DEP_4)
	v_fmac_f32_e32 v39, v34, v14
	v_mul_f32_e32 v21, v45, v0
	v_mul_f32_e32 v23, v47, v4
	v_add_f32_e32 v4, v22, v24
	v_dual_sub_f32 v6, v20, v22 :: v_dual_sub_f32 v45, v37, v39
	s_delay_alu instid0(VALU_DEP_4) | instskip(SKIP_4) | instid1(VALU_DEP_4)
	v_fma_f32 v0, v44, v1, -v21
	v_dual_sub_f32 v44, v30, v28 :: v_dual_mul_f32 v35, v35, v14
	v_fma_f32 v1, v46, v5, -v23
	v_fma_f32 v21, v42, v13, -v27
	v_fma_f32 v5, v38, v7, -v31
	v_fma_f32 v23, v34, v15, -v35
	s_delay_alu instid0(VALU_DEP_3) | instskip(NEXT) | instid1(VALU_DEP_2)
	v_add_f32_e32 v32, v0, v21
	v_sub_f32_e32 v50, v23, v11
	v_fma_f32 v2, v36, v3, -v29
	v_dual_mul_f32 v25, v41, v8 :: v_dual_add_f32 v8, v20, v26
	v_sub_f32_e32 v74, v11, v23
	s_wait_dscnt 0x0
	s_delay_alu instid0(VALU_DEP_3) | instskip(NEXT) | instid1(VALU_DEP_3)
	v_add_f32_e32 v46, v19, v2
	v_fma_f32 v9, v40, v9, -v25
	v_dual_sub_f32 v38, v2, v23 :: v_dual_sub_f32 v29, v0, v1
	v_sub_f32_e32 v40, v5, v11
	v_sub_f32_e32 v33, v1, v0
	s_delay_alu instid0(VALU_DEP_4)
	v_sub_f32_e32 v31, v21, v9
	v_sub_f32_e32 v34, v9, v21
	v_sub_f32_e32 v73, v5, v2
	v_sub_f32_e32 v15, v0, v21
	v_add_f32_e32 v51, v2, v23
	v_add_f32_e32 v29, v29, v31
	;; [unrolled: 1-line block ×3, first 2 shown]
	v_dual_add_f32 v34, v73, v74 :: v_dual_sub_f32 v49, v2, v5
	v_fma_f32 v2, -0.5, v8, v16
	v_add_f32_e32 v13, v17, v0
	v_fma_f32 v0, -0.5, v4, v16
	v_sub_f32_e32 v25, v1, v9
	v_dual_sub_f32 v7, v26, v24 :: v_dual_add_f32 v14, v1, v9
	s_delay_alu instid0(VALU_DEP_1) | instskip(SKIP_1) | instid1(VALU_DEP_4)
	v_dual_add_f32 v81, v6, v7 :: v_dual_fmamk_f32 v6, v15, 0xbf737871, v0
	v_fmac_f32_e32 v0, 0x3f737871, v15
	v_fmamk_f32 v8, v25, 0x3f737871, v2
	v_fmac_f32_e32 v2, 0xbf737871, v25
	v_add_f32_e32 v7, v13, v1
	v_add_f32_e32 v13, v46, v5
	v_add_f32_e32 v35, v18, v28
	v_add_f32_e32 v3, v16, v20
	v_sub_f32_e32 v27, v22, v24
	v_fma_f32 v1, -0.5, v14, v17
	v_dual_add_f32 v47, v5, v11 :: v_dual_fmac_f32 v0, 0x3f167918, v25
	v_add_f32_e32 v10, v35, v30
	v_add_f32_e32 v22, v3, v22
	v_sub_f32_e32 v20, v20, v26
	v_fma_f32 v3, -0.5, v32, v17
	v_fmac_f32_e32 v2, 0x3f167918, v15
	v_fma_f32 v5, -0.5, v47, v19
	v_add_f32_e32 v14, v22, v24
	v_dual_add_f32 v36, v30, v37 :: v_dual_add_f32 v43, v28, v39
	s_delay_alu instid0(VALU_DEP_4) | instskip(NEXT) | instid1(VALU_DEP_3)
	v_dual_add_f32 v17, v10, v37 :: v_dual_fmac_f32 v2, 0x3e9e377a, v82
	v_add_f32_e32 v14, v14, v26
	s_delay_alu instid0(VALU_DEP_3) | instskip(NEXT) | instid1(VALU_DEP_4)
	v_fma_f32 v4, -0.5, v36, v18
	v_fma_f32 v18, -0.5, v43, v18
	v_dual_sub_f32 v41, v28, v30 :: v_dual_sub_f32 v42, v39, v37
	v_sub_f32_e32 v28, v28, v39
	s_delay_alu instid0(VALU_DEP_4) | instskip(NEXT) | instid1(VALU_DEP_4)
	v_fmamk_f32 v10, v38, 0xbf737871, v4
	v_fmamk_f32 v12, v40, 0x3f737871, v18
	v_fmac_f32_e32 v18, 0xbf737871, v40
	v_fmac_f32_e32 v8, 0xbf167918, v15
	v_add_f32_e32 v30, v41, v42
	v_fmac_f32_e32 v10, 0xbf167918, v40
	v_fmac_f32_e32 v12, 0xbf167918, v38
	v_dual_add_f32 v16, v7, v9 :: v_dual_fmac_f32 v19, -0.5, v51
	v_fmac_f32_e32 v8, 0x3e9e377a, v82
	v_fmamk_f32 v7, v20, 0x3f737871, v1
	v_fmamk_f32 v9, v27, 0xbf737871, v3
	v_fmac_f32_e32 v3, 0x3f737871, v27
	v_fmac_f32_e32 v1, 0xbf737871, v20
	v_dual_fmac_f32 v4, 0x3f737871, v38 :: v_dual_add_f32 v15, v16, v21
	v_fmac_f32_e32 v10, 0x3e9e377a, v30
	v_add_f32_e32 v16, v17, v39
	v_dual_add_f32 v22, v13, v11 :: v_dual_fmamk_f32 v11, v28, 0x3f737871, v5
	v_fmac_f32_e32 v5, 0xbf737871, v28
	v_fmamk_f32 v13, v48, 0xbf737871, v19
	v_fmac_f32_e32 v19, 0x3f737871, v48
	v_fmac_f32_e32 v6, 0xbf167918, v25
	;; [unrolled: 1-line block ×6, first 2 shown]
	v_dual_fmac_f32 v4, 0x3f167918, v40 :: v_dual_add_f32 v33, v49, v50
	v_fmac_f32_e32 v0, 0x3e9e377a, v81
	v_dual_fmac_f32 v5, 0xbf167918, v48 :: v_dual_add_f32 v32, v44, v45
	v_dual_fmac_f32 v18, 0x3f167918, v38 :: v_dual_fmac_f32 v11, 0x3f167918, v48
	v_fmac_f32_e32 v13, 0x3f167918, v28
	v_fmac_f32_e32 v19, 0xbf167918, v28
	;; [unrolled: 1-line block ×3, first 2 shown]
	v_dual_fmac_f32 v7, 0x3e9e377a, v29 :: v_dual_fmac_f32 v12, 0x3e9e377a, v32
	v_fmac_f32_e32 v9, 0x3e9e377a, v31
	v_fmac_f32_e32 v3, 0x3e9e377a, v31
	v_dual_fmac_f32 v1, 0x3e9e377a, v29 :: v_dual_fmac_f32 v18, 0x3e9e377a, v32
	v_dual_add_f32 v17, v22, v23 :: v_dual_fmac_f32 v4, 0x3e9e377a, v30
	v_fmac_f32_e32 v5, 0x3e9e377a, v33
	v_fmac_f32_e32 v11, 0x3e9e377a, v33
	;; [unrolled: 1-line block ×4, first 2 shown]
	ds_store_b64 v76, v[6:7] offset:4000
	ds_store_b64 v76, v[8:9] offset:8000
	;; [unrolled: 1-line block ×4, first 2 shown]
	ds_store_2addr_b64 v76, v[14:15], v[16:17] offset1:250
	ds_store_b64 v76, v[10:11] offset:6000
	ds_store_b64 v76, v[12:13] offset:10000
	;; [unrolled: 1-line block ×4, first 2 shown]
	global_wb scope:SCOPE_SE
	s_wait_dscnt 0x0
	s_barrier_signal -1
	s_barrier_wait -1
	global_inv scope:SCOPE_SE
	ds_load_2addr_b64 v[0:3], v76 offset1:250
	ds_load_2addr_b64 v[4:7], v80 offset0:4 offset1:254
	ds_load_2addr_b64 v[8:11], v79 offset1:250
	ds_load_2addr_b64 v[12:15], v78 offset0:4 offset1:254
	ds_load_2addr_b64 v[16:19], v77 offset1:250
	v_mad_co_u64_u32 v[20:21], null, s6, v52, 0
	v_mad_co_u64_u32 v[22:23], null, s4, v75, 0
	s_delay_alu instid0(VALU_DEP_1)
	v_mad_co_u64_u32 v[24:25], null, s7, v52, v[21:22]
	s_wait_dscnt 0x4
	v_mul_f32_e32 v21, v64, v1
	v_mul_f32_e32 v25, v64, v0
	;; [unrolled: 1-line block ×4, first 2 shown]
	s_wait_dscnt 0x3
	v_mul_f32_e32 v28, v56, v5
	v_dual_mul_f32 v29, v56, v4 :: v_dual_mul_f32 v30, v54, v7
	s_wait_dscnt 0x2
	v_dual_mul_f32 v31, v54, v6 :: v_dual_mul_f32 v32, v68, v9
	v_dual_mul_f32 v33, v68, v8 :: v_dual_mul_f32 v34, v66, v11
	v_mul_f32_e32 v35, v66, v10
	v_fmac_f32_e32 v21, v63, v0
	v_fma_f32 v25, v63, v1, -v25
	s_wait_dscnt 0x1
	v_mul_f32_e32 v36, v62, v13
	v_dual_mul_f32 v37, v62, v12 :: v_dual_fmac_f32 v26, v59, v2
	v_fma_f32 v27, v59, v3, -v27
	v_mul_f32_e32 v38, v58, v15
	v_dual_mul_f32 v39, v58, v14 :: v_dual_fmac_f32 v28, v55, v4
	v_fma_f32 v29, v55, v5, -v29
	s_wait_dscnt 0x0
	v_mul_f32_e32 v40, v70, v17
	v_dual_mul_f32 v41, v70, v16 :: v_dual_fmac_f32 v30, v53, v6
	v_fma_f32 v31, v53, v7, -v31
	v_mul_f32_e32 v42, v72, v19
	s_delay_alu instid0(VALU_DEP_4)
	v_dual_fmac_f32 v40, v69, v16 :: v_dual_mul_f32 v43, v72, v18
	v_fmac_f32_e32 v32, v67, v8
	v_fma_f32 v33, v67, v9, -v33
	v_fmac_f32_e32 v34, v65, v10
	v_fma_f32 v35, v65, v11, -v35
	v_cvt_f64_f32_e32 v[0:1], v21
	v_cvt_f64_f32_e32 v[2:3], v25
	v_fmac_f32_e32 v36, v61, v12
	v_fma_f32 v37, v61, v13, -v37
	v_cvt_f64_f32_e32 v[4:5], v26
	v_cvt_f64_f32_e32 v[6:7], v27
	;; [unrolled: 4-line block ×3, first 2 shown]
	v_fma_f32 v41, v69, v17, -v41
	v_cvt_f64_f32_e32 v[12:13], v30
	v_cvt_f64_f32_e32 v[14:15], v31
	v_fmac_f32_e32 v42, v71, v18
	v_fma_f32 v43, v71, v19, -v43
	v_cvt_f64_f32_e32 v[16:17], v32
	v_cvt_f64_f32_e32 v[18:19], v33
	;; [unrolled: 1-line block ×12, first 2 shown]
	v_mov_b32_e32 v21, v24
	v_mad_co_u64_u32 v[45:46], null, s5, v75, v[23:24]
	s_delay_alu instid0(VALU_DEP_2) | instskip(NEXT) | instid1(VALU_DEP_2)
	v_lshlrev_b64_e32 v[20:21], 3, v[20:21]
	v_mov_b32_e32 v23, v45
	s_wait_alu 0xfffe
	v_mul_f64_e32 v[0:1], s[2:3], v[0:1]
	v_mul_f64_e32 v[2:3], s[2:3], v[2:3]
	s_delay_alu instid0(VALU_DEP_4)
	v_add_co_u32 v45, vcc_lo, s0, v20
	v_mul_f64_e32 v[4:5], s[2:3], v[4:5]
	v_mul_f64_e32 v[6:7], s[2:3], v[6:7]
	s_wait_alu 0xfffd
	v_add_co_ci_u32_e32 v46, vcc_lo, s1, v21, vcc_lo
	v_mul_f64_e32 v[8:9], s[2:3], v[8:9]
	v_mul_f64_e32 v[10:11], s[2:3], v[10:11]
	v_lshlrev_b64_e32 v[22:23], 3, v[22:23]
	v_mul_f64_e32 v[12:13], s[2:3], v[12:13]
	v_mul_f64_e32 v[14:15], s[2:3], v[14:15]
	s_mul_u64 s[0:1], s[4:5], 0x7d0
	v_mul_f64_e32 v[16:17], s[2:3], v[16:17]
	v_mul_f64_e32 v[18:19], s[2:3], v[18:19]
	;; [unrolled: 1-line block ×12, first 2 shown]
	v_add_co_u32 v22, vcc_lo, v45, v22
	s_wait_alu 0xfffd
	v_add_co_ci_u32_e32 v23, vcc_lo, v46, v23, vcc_lo
	s_wait_alu 0xfffe
	s_delay_alu instid0(VALU_DEP_2) | instskip(SKIP_1) | instid1(VALU_DEP_2)
	v_add_co_u32 v42, vcc_lo, v22, s0
	s_wait_alu 0xfffd
	v_add_co_ci_u32_e32 v43, vcc_lo, s1, v23, vcc_lo
	s_delay_alu instid0(VALU_DEP_2)
	v_add_co_u32 v44, vcc_lo, v42, s0
	v_cvt_f32_f64_e32 v0, v[0:1]
	v_cvt_f32_f64_e32 v1, v[2:3]
	s_wait_alu 0xfffd
	v_add_co_ci_u32_e32 v45, vcc_lo, s1, v43, vcc_lo
	v_cvt_f32_f64_e32 v2, v[4:5]
	v_cvt_f32_f64_e32 v3, v[6:7]
	v_add_co_u32 v46, vcc_lo, v44, s0
	v_cvt_f32_f64_e32 v4, v[8:9]
	v_cvt_f32_f64_e32 v5, v[10:11]
	;; [unrolled: 1-line block ×4, first 2 shown]
	s_wait_alu 0xfffd
	v_add_co_ci_u32_e32 v47, vcc_lo, s1, v45, vcc_lo
	v_cvt_f32_f64_e32 v8, v[16:17]
	v_cvt_f32_f64_e32 v9, v[18:19]
	;; [unrolled: 1-line block ×12, first 2 shown]
	v_add_co_u32 v20, vcc_lo, v46, s0
	s_wait_alu 0xfffd
	v_add_co_ci_u32_e32 v21, vcc_lo, s1, v47, vcc_lo
	s_delay_alu instid0(VALU_DEP_2) | instskip(SKIP_1) | instid1(VALU_DEP_2)
	v_add_co_u32 v24, vcc_lo, v20, s0
	s_wait_alu 0xfffd
	v_add_co_ci_u32_e32 v25, vcc_lo, s1, v21, vcc_lo
	s_delay_alu instid0(VALU_DEP_2) | instskip(SKIP_1) | instid1(VALU_DEP_2)
	;; [unrolled: 4-line block ×5, first 2 shown]
	v_add_co_u32 v32, vcc_lo, v30, s0
	s_wait_alu 0xfffd
	v_add_co_ci_u32_e32 v33, vcc_lo, s1, v31, vcc_lo
	s_clause 0x4
	global_store_b64 v[22:23], v[0:1], off
	global_store_b64 v[42:43], v[2:3], off
	;; [unrolled: 1-line block ×10, first 2 shown]
.LBB0_2:
	s_nop 0
	s_sendmsg sendmsg(MSG_DEALLOC_VGPRS)
	s_endpgm
	.section	.rodata,"a",@progbits
	.p2align	6, 0x0
	.amdhsa_kernel bluestein_single_back_len2500_dim1_sp_op_CI_CI
		.amdhsa_group_segment_fixed_size 20000
		.amdhsa_private_segment_fixed_size 0
		.amdhsa_kernarg_size 104
		.amdhsa_user_sgpr_count 2
		.amdhsa_user_sgpr_dispatch_ptr 0
		.amdhsa_user_sgpr_queue_ptr 0
		.amdhsa_user_sgpr_kernarg_segment_ptr 1
		.amdhsa_user_sgpr_dispatch_id 0
		.amdhsa_user_sgpr_private_segment_size 0
		.amdhsa_wavefront_size32 1
		.amdhsa_uses_dynamic_stack 0
		.amdhsa_enable_private_segment 0
		.amdhsa_system_sgpr_workgroup_id_x 1
		.amdhsa_system_sgpr_workgroup_id_y 0
		.amdhsa_system_sgpr_workgroup_id_z 0
		.amdhsa_system_sgpr_workgroup_info 0
		.amdhsa_system_vgpr_workitem_id 0
		.amdhsa_next_free_vgpr 138
		.amdhsa_next_free_sgpr 20
		.amdhsa_reserve_vcc 1
		.amdhsa_float_round_mode_32 0
		.amdhsa_float_round_mode_16_64 0
		.amdhsa_float_denorm_mode_32 3
		.amdhsa_float_denorm_mode_16_64 3
		.amdhsa_fp16_overflow 0
		.amdhsa_workgroup_processor_mode 1
		.amdhsa_memory_ordered 1
		.amdhsa_forward_progress 0
		.amdhsa_round_robin_scheduling 0
		.amdhsa_exception_fp_ieee_invalid_op 0
		.amdhsa_exception_fp_denorm_src 0
		.amdhsa_exception_fp_ieee_div_zero 0
		.amdhsa_exception_fp_ieee_overflow 0
		.amdhsa_exception_fp_ieee_underflow 0
		.amdhsa_exception_fp_ieee_inexact 0
		.amdhsa_exception_int_div_zero 0
	.end_amdhsa_kernel
	.text
.Lfunc_end0:
	.size	bluestein_single_back_len2500_dim1_sp_op_CI_CI, .Lfunc_end0-bluestein_single_back_len2500_dim1_sp_op_CI_CI
                                        ; -- End function
	.section	.AMDGPU.csdata,"",@progbits
; Kernel info:
; codeLenInByte = 11736
; NumSgprs: 22
; NumVgprs: 138
; ScratchSize: 0
; MemoryBound: 0
; FloatMode: 240
; IeeeMode: 1
; LDSByteSize: 20000 bytes/workgroup (compile time only)
; SGPRBlocks: 2
; VGPRBlocks: 17
; NumSGPRsForWavesPerEU: 22
; NumVGPRsForWavesPerEU: 138
; Occupancy: 10
; WaveLimiterHint : 1
; COMPUTE_PGM_RSRC2:SCRATCH_EN: 0
; COMPUTE_PGM_RSRC2:USER_SGPR: 2
; COMPUTE_PGM_RSRC2:TRAP_HANDLER: 0
; COMPUTE_PGM_RSRC2:TGID_X_EN: 1
; COMPUTE_PGM_RSRC2:TGID_Y_EN: 0
; COMPUTE_PGM_RSRC2:TGID_Z_EN: 0
; COMPUTE_PGM_RSRC2:TIDIG_COMP_CNT: 0
	.text
	.p2alignl 7, 3214868480
	.fill 96, 4, 3214868480
	.type	__hip_cuid_dc00635f1ff706be,@object ; @__hip_cuid_dc00635f1ff706be
	.section	.bss,"aw",@nobits
	.globl	__hip_cuid_dc00635f1ff706be
__hip_cuid_dc00635f1ff706be:
	.byte	0                               ; 0x0
	.size	__hip_cuid_dc00635f1ff706be, 1

	.ident	"AMD clang version 19.0.0git (https://github.com/RadeonOpenCompute/llvm-project roc-6.4.0 25133 c7fe45cf4b819c5991fe208aaa96edf142730f1d)"
	.section	".note.GNU-stack","",@progbits
	.addrsig
	.addrsig_sym __hip_cuid_dc00635f1ff706be
	.amdgpu_metadata
---
amdhsa.kernels:
  - .args:
      - .actual_access:  read_only
        .address_space:  global
        .offset:         0
        .size:           8
        .value_kind:     global_buffer
      - .actual_access:  read_only
        .address_space:  global
        .offset:         8
        .size:           8
        .value_kind:     global_buffer
      - .actual_access:  read_only
        .address_space:  global
        .offset:         16
        .size:           8
        .value_kind:     global_buffer
      - .actual_access:  read_only
        .address_space:  global
        .offset:         24
        .size:           8
        .value_kind:     global_buffer
      - .actual_access:  read_only
        .address_space:  global
        .offset:         32
        .size:           8
        .value_kind:     global_buffer
      - .offset:         40
        .size:           8
        .value_kind:     by_value
      - .address_space:  global
        .offset:         48
        .size:           8
        .value_kind:     global_buffer
      - .address_space:  global
        .offset:         56
        .size:           8
        .value_kind:     global_buffer
      - .address_space:  global
        .offset:         64
        .size:           8
        .value_kind:     global_buffer
      - .address_space:  global
        .offset:         72
        .size:           8
        .value_kind:     global_buffer
      - .offset:         80
        .size:           4
        .value_kind:     by_value
      - .address_space:  global
        .offset:         88
        .size:           8
        .value_kind:     global_buffer
      - .address_space:  global
        .offset:         96
        .size:           8
        .value_kind:     global_buffer
    .group_segment_fixed_size: 20000
    .kernarg_segment_align: 8
    .kernarg_segment_size: 104
    .language:       OpenCL C
    .language_version:
      - 2
      - 0
    .max_flat_workgroup_size: 250
    .name:           bluestein_single_back_len2500_dim1_sp_op_CI_CI
    .private_segment_fixed_size: 0
    .sgpr_count:     22
    .sgpr_spill_count: 0
    .symbol:         bluestein_single_back_len2500_dim1_sp_op_CI_CI.kd
    .uniform_work_group_size: 1
    .uses_dynamic_stack: false
    .vgpr_count:     138
    .vgpr_spill_count: 0
    .wavefront_size: 32
    .workgroup_processor_mode: 1
amdhsa.target:   amdgcn-amd-amdhsa--gfx1201
amdhsa.version:
  - 1
  - 2
...

	.end_amdgpu_metadata
